;; amdgpu-corpus repo=ROCm/rocFFT kind=compiled arch=gfx906 opt=O3
	.text
	.amdgcn_target "amdgcn-amd-amdhsa--gfx906"
	.amdhsa_code_object_version 6
	.protected	fft_rtc_back_len1872_factors_13_3_4_6_2_wgs_156_tpt_156_halfLds_dp_op_CI_CI_unitstride_sbrr_R2C_dirReg ; -- Begin function fft_rtc_back_len1872_factors_13_3_4_6_2_wgs_156_tpt_156_halfLds_dp_op_CI_CI_unitstride_sbrr_R2C_dirReg
	.globl	fft_rtc_back_len1872_factors_13_3_4_6_2_wgs_156_tpt_156_halfLds_dp_op_CI_CI_unitstride_sbrr_R2C_dirReg
	.p2align	8
	.type	fft_rtc_back_len1872_factors_13_3_4_6_2_wgs_156_tpt_156_halfLds_dp_op_CI_CI_unitstride_sbrr_R2C_dirReg,@function
fft_rtc_back_len1872_factors_13_3_4_6_2_wgs_156_tpt_156_halfLds_dp_op_CI_CI_unitstride_sbrr_R2C_dirReg: ; @fft_rtc_back_len1872_factors_13_3_4_6_2_wgs_156_tpt_156_halfLds_dp_op_CI_CI_unitstride_sbrr_R2C_dirReg
; %bb.0:
	s_load_dwordx4 s[8:11], s[4:5], 0x58
	s_load_dwordx4 s[12:15], s[4:5], 0x0
	;; [unrolled: 1-line block ×3, first 2 shown]
	v_mul_u32_u24_e32 v1, 0x1a5, v0
	v_add_u32_sdwa v5, s6, v1 dst_sel:DWORD dst_unused:UNUSED_PAD src0_sel:DWORD src1_sel:WORD_1
	v_mov_b32_e32 v3, 0
	s_waitcnt lgkmcnt(0)
	v_cmp_lt_u64_e64 s[0:1], s[14:15], 2
	v_mov_b32_e32 v1, 0
	v_mov_b32_e32 v6, v3
	s_and_b64 vcc, exec, s[0:1]
	v_mov_b32_e32 v2, 0
	s_cbranch_vccnz .LBB0_8
; %bb.1:
	s_load_dwordx2 s[0:1], s[4:5], 0x10
	s_add_u32 s2, s18, 8
	s_addc_u32 s3, s19, 0
	s_add_u32 s6, s16, 8
	v_mov_b32_e32 v1, 0
	s_addc_u32 s7, s17, 0
	v_mov_b32_e32 v2, 0
	s_waitcnt lgkmcnt(0)
	s_add_u32 s20, s0, 8
	v_mov_b32_e32 v53, v2
	s_addc_u32 s21, s1, 0
	s_mov_b64 s[22:23], 1
	v_mov_b32_e32 v52, v1
.LBB0_2:                                ; =>This Inner Loop Header: Depth=1
	s_load_dwordx2 s[24:25], s[20:21], 0x0
                                        ; implicit-def: $vgpr56_vgpr57
	s_waitcnt lgkmcnt(0)
	v_or_b32_e32 v4, s25, v6
	v_cmp_ne_u64_e32 vcc, 0, v[3:4]
	s_and_saveexec_b64 s[0:1], vcc
	s_xor_b64 s[26:27], exec, s[0:1]
	s_cbranch_execz .LBB0_4
; %bb.3:                                ;   in Loop: Header=BB0_2 Depth=1
	v_cvt_f32_u32_e32 v4, s24
	v_cvt_f32_u32_e32 v7, s25
	s_sub_u32 s0, 0, s24
	s_subb_u32 s1, 0, s25
	v_mac_f32_e32 v4, 0x4f800000, v7
	v_rcp_f32_e32 v4, v4
	v_mul_f32_e32 v4, 0x5f7ffffc, v4
	v_mul_f32_e32 v7, 0x2f800000, v4
	v_trunc_f32_e32 v7, v7
	v_mac_f32_e32 v4, 0xcf800000, v7
	v_cvt_u32_f32_e32 v7, v7
	v_cvt_u32_f32_e32 v4, v4
	v_mul_lo_u32 v8, s0, v7
	v_mul_hi_u32 v9, s0, v4
	v_mul_lo_u32 v11, s1, v4
	v_mul_lo_u32 v10, s0, v4
	v_add_u32_e32 v8, v9, v8
	v_add_u32_e32 v8, v8, v11
	v_mul_hi_u32 v9, v4, v10
	v_mul_lo_u32 v11, v4, v8
	v_mul_hi_u32 v13, v4, v8
	v_mul_hi_u32 v12, v7, v10
	v_mul_lo_u32 v10, v7, v10
	v_mul_hi_u32 v14, v7, v8
	v_add_co_u32_e32 v9, vcc, v9, v11
	v_addc_co_u32_e32 v11, vcc, 0, v13, vcc
	v_mul_lo_u32 v8, v7, v8
	v_add_co_u32_e32 v9, vcc, v9, v10
	v_addc_co_u32_e32 v9, vcc, v11, v12, vcc
	v_addc_co_u32_e32 v10, vcc, 0, v14, vcc
	v_add_co_u32_e32 v8, vcc, v9, v8
	v_addc_co_u32_e32 v9, vcc, 0, v10, vcc
	v_add_co_u32_e32 v4, vcc, v4, v8
	v_addc_co_u32_e32 v7, vcc, v7, v9, vcc
	v_mul_lo_u32 v8, s0, v7
	v_mul_hi_u32 v9, s0, v4
	v_mul_lo_u32 v10, s1, v4
	v_mul_lo_u32 v11, s0, v4
	v_add_u32_e32 v8, v9, v8
	v_add_u32_e32 v8, v8, v10
	v_mul_lo_u32 v12, v4, v8
	v_mul_hi_u32 v13, v4, v11
	v_mul_hi_u32 v14, v4, v8
	v_mul_hi_u32 v10, v7, v11
	v_mul_lo_u32 v11, v7, v11
	v_mul_hi_u32 v9, v7, v8
	v_add_co_u32_e32 v12, vcc, v13, v12
	v_addc_co_u32_e32 v13, vcc, 0, v14, vcc
	v_mul_lo_u32 v8, v7, v8
	v_add_co_u32_e32 v11, vcc, v12, v11
	v_addc_co_u32_e32 v10, vcc, v13, v10, vcc
	v_addc_co_u32_e32 v9, vcc, 0, v9, vcc
	v_add_co_u32_e32 v8, vcc, v10, v8
	v_addc_co_u32_e32 v9, vcc, 0, v9, vcc
	v_add_co_u32_e32 v4, vcc, v4, v8
	v_addc_co_u32_e32 v9, vcc, v7, v9, vcc
	v_mad_u64_u32 v[7:8], s[0:1], v5, v9, 0
	v_mul_hi_u32 v10, v5, v4
	v_add_co_u32_e32 v11, vcc, v10, v7
	v_addc_co_u32_e32 v12, vcc, 0, v8, vcc
	v_mad_u64_u32 v[7:8], s[0:1], v6, v4, 0
	v_mad_u64_u32 v[9:10], s[0:1], v6, v9, 0
	v_add_co_u32_e32 v4, vcc, v11, v7
	v_addc_co_u32_e32 v4, vcc, v12, v8, vcc
	v_addc_co_u32_e32 v7, vcc, 0, v10, vcc
	v_add_co_u32_e32 v4, vcc, v4, v9
	v_addc_co_u32_e32 v9, vcc, 0, v7, vcc
	v_mul_lo_u32 v10, s25, v4
	v_mul_lo_u32 v11, s24, v9
	v_mad_u64_u32 v[7:8], s[0:1], s24, v4, 0
	v_add3_u32 v8, v8, v11, v10
	v_sub_u32_e32 v10, v6, v8
	v_mov_b32_e32 v11, s25
	v_sub_co_u32_e32 v7, vcc, v5, v7
	v_subb_co_u32_e64 v10, s[0:1], v10, v11, vcc
	v_subrev_co_u32_e64 v11, s[0:1], s24, v7
	v_subbrev_co_u32_e64 v10, s[0:1], 0, v10, s[0:1]
	v_cmp_le_u32_e64 s[0:1], s25, v10
	v_cndmask_b32_e64 v12, 0, -1, s[0:1]
	v_cmp_le_u32_e64 s[0:1], s24, v11
	v_cndmask_b32_e64 v11, 0, -1, s[0:1]
	v_cmp_eq_u32_e64 s[0:1], s25, v10
	v_cndmask_b32_e64 v10, v12, v11, s[0:1]
	v_add_co_u32_e64 v11, s[0:1], 2, v4
	v_addc_co_u32_e64 v12, s[0:1], 0, v9, s[0:1]
	v_add_co_u32_e64 v13, s[0:1], 1, v4
	v_addc_co_u32_e64 v14, s[0:1], 0, v9, s[0:1]
	v_subb_co_u32_e32 v8, vcc, v6, v8, vcc
	v_cmp_ne_u32_e64 s[0:1], 0, v10
	v_cmp_le_u32_e32 vcc, s25, v8
	v_cndmask_b32_e64 v10, v14, v12, s[0:1]
	v_cndmask_b32_e64 v12, 0, -1, vcc
	v_cmp_le_u32_e32 vcc, s24, v7
	v_cndmask_b32_e64 v7, 0, -1, vcc
	v_cmp_eq_u32_e32 vcc, s25, v8
	v_cndmask_b32_e32 v7, v12, v7, vcc
	v_cmp_ne_u32_e32 vcc, 0, v7
	v_cndmask_b32_e64 v7, v13, v11, s[0:1]
	v_cndmask_b32_e32 v57, v9, v10, vcc
	v_cndmask_b32_e32 v56, v4, v7, vcc
.LBB0_4:                                ;   in Loop: Header=BB0_2 Depth=1
	s_andn2_saveexec_b64 s[0:1], s[26:27]
	s_cbranch_execz .LBB0_6
; %bb.5:                                ;   in Loop: Header=BB0_2 Depth=1
	v_cvt_f32_u32_e32 v4, s24
	s_sub_i32 s26, 0, s24
	v_mov_b32_e32 v57, v3
	v_rcp_iflag_f32_e32 v4, v4
	v_mul_f32_e32 v4, 0x4f7ffffe, v4
	v_cvt_u32_f32_e32 v4, v4
	v_mul_lo_u32 v7, s26, v4
	v_mul_hi_u32 v7, v4, v7
	v_add_u32_e32 v4, v4, v7
	v_mul_hi_u32 v4, v5, v4
	v_mul_lo_u32 v7, v4, s24
	v_add_u32_e32 v8, 1, v4
	v_sub_u32_e32 v7, v5, v7
	v_subrev_u32_e32 v9, s24, v7
	v_cmp_le_u32_e32 vcc, s24, v7
	v_cndmask_b32_e32 v7, v7, v9, vcc
	v_cndmask_b32_e32 v4, v4, v8, vcc
	v_add_u32_e32 v8, 1, v4
	v_cmp_le_u32_e32 vcc, s24, v7
	v_cndmask_b32_e32 v56, v4, v8, vcc
.LBB0_6:                                ;   in Loop: Header=BB0_2 Depth=1
	s_or_b64 exec, exec, s[0:1]
	v_mul_lo_u32 v4, v57, s24
	v_mul_lo_u32 v9, v56, s25
	v_mad_u64_u32 v[7:8], s[0:1], v56, s24, 0
	s_load_dwordx2 s[0:1], s[6:7], 0x0
	s_load_dwordx2 s[24:25], s[2:3], 0x0
	v_add3_u32 v4, v8, v9, v4
	v_sub_co_u32_e32 v5, vcc, v5, v7
	v_subb_co_u32_e32 v4, vcc, v6, v4, vcc
	s_waitcnt lgkmcnt(0)
	v_mul_lo_u32 v6, s0, v4
	v_mul_lo_u32 v7, s1, v5
	v_mad_u64_u32 v[1:2], s[0:1], s0, v5, v[1:2]
	v_mul_lo_u32 v4, s24, v4
	v_mul_lo_u32 v8, s25, v5
	v_mad_u64_u32 v[52:53], s[0:1], s24, v5, v[52:53]
	s_add_u32 s22, s22, 1
	s_addc_u32 s23, s23, 0
	s_add_u32 s2, s2, 8
	v_add3_u32 v53, v8, v53, v4
	s_addc_u32 s3, s3, 0
	v_mov_b32_e32 v4, s14
	s_add_u32 s6, s6, 8
	v_mov_b32_e32 v5, s15
	s_addc_u32 s7, s7, 0
	v_cmp_ge_u64_e32 vcc, s[22:23], v[4:5]
	s_add_u32 s20, s20, 8
	v_add3_u32 v2, v7, v2, v6
	s_addc_u32 s21, s21, 0
	s_cbranch_vccnz .LBB0_9
; %bb.7:                                ;   in Loop: Header=BB0_2 Depth=1
	v_mov_b32_e32 v5, v56
	v_mov_b32_e32 v6, v57
	s_branch .LBB0_2
.LBB0_8:
	v_mov_b32_e32 v53, v2
	v_mov_b32_e32 v57, v6
	;; [unrolled: 1-line block ×4, first 2 shown]
.LBB0_9:
	s_load_dwordx2 s[4:5], s[4:5], 0x28
	s_lshl_b64 s[6:7], s[14:15], 3
	s_add_u32 s2, s18, s6
	s_addc_u32 s3, s19, s7
                                        ; implicit-def: $vgpr54
	s_waitcnt lgkmcnt(0)
	v_cmp_gt_u64_e64 s[0:1], s[4:5], v[56:57]
	v_cmp_le_u64_e32 vcc, s[4:5], v[56:57]
	s_and_saveexec_b64 s[4:5], vcc
	s_xor_b64 s[4:5], exec, s[4:5]
; %bb.10:
	s_mov_b32 s14, 0x1a41a42
	v_mul_hi_u32 v1, v0, s14
	v_mul_u32_u24_e32 v1, 0x9c, v1
	v_sub_u32_e32 v54, v0, v1
                                        ; implicit-def: $vgpr0
                                        ; implicit-def: $vgpr1_vgpr2
; %bb.11:
	s_andn2_saveexec_b64 s[4:5], s[4:5]
	s_cbranch_execz .LBB0_13
; %bb.12:
	s_add_u32 s6, s16, s6
	s_addc_u32 s7, s17, s7
	s_load_dwordx2 s[6:7], s[6:7], 0x0
	s_mov_b32 s14, 0x1a41a42
	v_mul_hi_u32 v5, v0, s14
	s_waitcnt lgkmcnt(0)
	v_mul_lo_u32 v6, s7, v56
	v_mul_lo_u32 v7, s6, v57
	v_mad_u64_u32 v[3:4], s[6:7], s6, v56, 0
	v_mul_u32_u24_e32 v5, 0x9c, v5
	v_sub_u32_e32 v54, v0, v5
	v_add3_u32 v4, v4, v7, v6
	v_lshlrev_b64 v[3:4], 4, v[3:4]
	v_mov_b32_e32 v0, s9
	v_add_co_u32_e32 v3, vcc, s8, v3
	v_addc_co_u32_e32 v4, vcc, v0, v4, vcc
	v_lshlrev_b64 v[0:1], 4, v[1:2]
	v_lshlrev_b32_e32 v55, 4, v54
	v_add_co_u32_e32 v0, vcc, v3, v0
	v_addc_co_u32_e32 v1, vcc, v4, v1, vcc
	v_add_co_u32_e32 v32, vcc, v0, v55
	v_addc_co_u32_e32 v33, vcc, 0, v1, vcc
	s_movk_i32 s6, 0x1000
	v_add_co_u32_e32 v16, vcc, s6, v32
	v_addc_co_u32_e32 v17, vcc, 0, v33, vcc
	s_movk_i32 s6, 0x2000
	v_add_co_u32_e32 v24, vcc, s6, v32
	s_movk_i32 s7, 0x3000
	v_addc_co_u32_e32 v25, vcc, 0, v33, vcc
	v_add_co_u32_e32 v34, vcc, s7, v32
	v_addc_co_u32_e32 v35, vcc, 0, v33, vcc
	s_movk_i32 s6, 0x4000
	v_add_co_u32_e32 v48, vcc, s6, v32
	v_addc_co_u32_e32 v49, vcc, 0, v33, vcc
	v_add_co_u32_e32 v50, vcc, 0x5000, v32
	v_addc_co_u32_e32 v51, vcc, 0, v33, vcc
	v_add_co_u32_e32 v58, vcc, 0x6000, v32
	global_load_dwordx4 v[0:3], v[32:33], off
	global_load_dwordx4 v[4:7], v[32:33], off offset:2496
	global_load_dwordx4 v[8:11], v[16:17], off offset:896
	;; [unrolled: 1-line block ×3, first 2 shown]
	s_nop 0
	global_load_dwordx4 v[16:19], v[24:25], off offset:1792
	global_load_dwordx4 v[20:23], v[34:35], off offset:192
	s_nop 0
	global_load_dwordx4 v[24:27], v[34:35], off offset:2688
	global_load_dwordx4 v[28:31], v[48:49], off offset:1088
	v_addc_co_u32_e32 v59, vcc, 0, v33, vcc
	global_load_dwordx4 v[32:35], v[48:49], off offset:3584
	global_load_dwordx4 v[36:39], v[50:51], off offset:1984
	;; [unrolled: 1-line block ×4, first 2 shown]
	v_add_u32_e32 v48, 0, v55
	s_waitcnt vmcnt(11)
	ds_write_b128 v48, v[0:3]
	s_waitcnt vmcnt(10)
	ds_write_b128 v48, v[4:7] offset:2496
	s_waitcnt vmcnt(9)
	ds_write_b128 v48, v[8:11] offset:4992
	;; [unrolled: 2-line block ×11, first 2 shown]
.LBB0_13:
	s_or_b64 exec, exec, s[4:5]
	v_lshl_add_u32 v88, v54, 4, 0
	s_waitcnt lgkmcnt(0)
	s_barrier
	ds_read_b128 v[0:3], v88
	ds_read_b128 v[32:35], v88 offset:2304
	ds_read_b128 v[40:43], v88 offset:4608
	;; [unrolled: 1-line block ×12, first 2 shown]
	s_movk_i32 s4, 0x90
	v_cmp_gt_u32_e32 vcc, s4, v54
	s_waitcnt lgkmcnt(0)
	s_barrier
	s_and_saveexec_b64 s[4:5], vcc
	s_cbranch_execz .LBB0_15
; %bb.14:
	v_add_f64 v[58:59], v[2:3], v[34:35]
	v_add_f64 v[68:69], v[0:1], v[32:33]
	v_add_f64 v[82:83], v[44:45], -v[24:25]
	v_add_f64 v[74:75], v[36:37], -v[28:29]
	v_add_f64 v[64:65], v[36:37], v[28:29]
	s_mov_b32 s8, 0x4bc48dbf
	s_mov_b32 s9, 0xbfcea1e5
	v_add_f64 v[62:63], v[12:13], -v[16:17]
	v_add_f64 v[70:71], v[58:59], v[42:43]
	v_add_f64 v[86:87], v[68:69], v[40:41]
	;; [unrolled: 1-line block ×5, first 2 shown]
	v_add_f64 v[72:73], v[38:39], -v[30:31]
	v_add_f64 v[84:85], v[48:49], -v[20:21]
	v_add_f64 v[78:79], v[50:51], v[22:23]
	v_add_f64 v[89:90], v[70:71], v[50:51]
	;; [unrolled: 1-line block ×3, first 2 shown]
	v_add_f64 v[86:87], v[32:33], -v[4:5]
	v_add_f64 v[76:77], v[48:49], v[20:21]
	v_add_f64 v[48:49], v[50:51], -v[22:23]
	v_add_f64 v[50:51], v[40:41], -v[8:9]
	s_mov_b32 s6, 0x93053d00
	s_mov_b32 s29, 0x3fddbe06
	v_add_f64 v[89:90], v[89:90], v[46:47]
	v_add_f64 v[44:45], v[91:92], v[44:45]
	s_mov_b32 s28, 0x4267c47c
	s_mov_b32 s7, 0xbfef11f4
	v_add_f64 v[70:71], v[46:47], v[26:27]
	v_add_f64 v[80:81], v[46:47], -v[26:27]
	v_add_f64 v[46:47], v[42:43], v[10:11]
	v_add_f64 v[42:43], v[42:43], -v[10:11]
	v_add_f64 v[89:90], v[89:90], v[38:39]
	v_add_f64 v[36:37], v[44:45], v[36:37]
	v_add_f64 v[38:39], v[34:35], v[6:7]
	v_add_f64 v[34:35], v[34:35], -v[6:7]
	v_add_f64 v[32:33], v[32:33], v[4:5]
	s_mov_b32 s14, 0xe00740e9
	s_mov_b32 s18, 0x24c2f84
	;; [unrolled: 1-line block ×3, first 2 shown]
	v_add_f64 v[44:45], v[89:90], v[14:15]
	v_mul_f64 v[89:90], v[86:87], s[8:9]
	v_add_f64 v[12:13], v[36:37], v[12:13]
	v_mul_f64 v[91:92], v[34:35], s[8:9]
	s_mov_b32 s19, 0xbfe5384d
	v_add_f64 v[40:41], v[40:41], v[8:9]
	s_mov_b32 s16, 0xd0032e0c
	s_mov_b32 s40, 0x42a4c3d2
	v_add_f64 v[36:37], v[44:45], v[18:19]
	v_mul_f64 v[44:45], v[50:51], s[28:29]
	v_fma_f64 v[93:94], v[38:39], s[6:7], v[89:90]
	v_add_f64 v[12:13], v[12:13], v[16:17]
	v_fma_f64 v[97:98], v[32:33], s[6:7], -v[91:92]
	s_mov_b32 s17, 0xbfe7f3cc
	s_mov_b32 s41, 0x3fea55e2
	;; [unrolled: 1-line block ×3, first 2 shown]
	v_add_f64 v[16:17], v[36:37], v[30:31]
	v_mul_f64 v[30:31], v[42:43], s[28:29]
	v_mul_f64 v[36:37], v[84:85], s[18:19]
	v_fma_f64 v[95:96], v[46:47], s[14:15], v[44:45]
	v_add_f64 v[93:94], v[2:3], v[93:94]
	v_add_f64 v[12:13], v[12:13], v[28:29]
	v_mul_f64 v[28:29], v[48:49], s[18:19]
	s_mov_b32 s24, 0x2ef20147
	v_add_f64 v[16:17], v[16:17], v[26:27]
	v_mul_f64 v[26:27], v[82:83], s[40:41]
	v_fma_f64 v[99:100], v[40:41], s[14:15], -v[30:31]
	v_fma_f64 v[101:102], v[78:79], s[16:17], v[36:37]
	v_add_f64 v[93:94], v[95:96], v[93:94]
	v_add_f64 v[95:96], v[0:1], v[97:98]
	;; [unrolled: 1-line block ×3, first 2 shown]
	s_mov_b32 s21, 0x3fe22d96
	v_add_f64 v[16:17], v[16:17], v[22:23]
	s_mov_b32 s25, 0xbfedeba7
	v_fma_f64 v[24:25], v[70:71], s[20:21], v[26:27]
	v_fma_f64 v[97:98], v[76:77], s[16:17], -v[28:29]
	v_add_f64 v[93:94], v[101:102], v[93:94]
	v_add_f64 v[95:96], v[99:100], v[95:96]
	;; [unrolled: 1-line block ×3, first 2 shown]
	v_fma_f64 v[20:21], v[38:39], s[6:7], -v[89:90]
	v_add_f64 v[10:11], v[16:17], v[10:11]
	v_mul_f64 v[16:17], v[74:75], s[24:25]
	s_mov_b32 s22, 0xb2365da1
	s_mov_b32 s23, 0xbfd6b1d8
	v_add_f64 v[60:61], v[14:15], v[18:19]
	v_mul_f64 v[22:23], v[80:81], s[40:41]
	v_add_f64 v[24:25], v[24:25], v[93:94]
	v_add_f64 v[89:90], v[97:98], v[95:96]
	v_fma_f64 v[44:45], v[46:47], s[14:15], -v[44:45]
	v_fma_f64 v[97:98], v[66:67], s[22:23], v[16:17]
	v_add_f64 v[99:100], v[2:3], v[20:21]
	v_add_f64 v[20:21], v[14:15], -v[18:19]
	v_fma_f64 v[18:19], v[32:33], s[6:7], v[91:92]
	v_fma_f64 v[93:94], v[68:69], s[20:21], -v[22:23]
	v_mul_f64 v[95:96], v[72:73], s[24:25]
	v_add_f64 v[8:9], v[12:13], v[8:9]
	v_add_f64 v[6:7], v[10:11], v[6:7]
	;; [unrolled: 1-line block ×4, first 2 shown]
	v_fma_f64 v[24:25], v[78:79], s[16:17], -v[36:37]
	v_fma_f64 v[30:31], v[40:41], s[14:15], v[30:31]
	v_add_f64 v[18:19], v[0:1], v[18:19]
	s_mov_b32 s30, 0x66966769
	s_mov_b32 s31, 0x3fefc445
	v_add_f64 v[14:15], v[93:94], v[89:90]
	v_fma_f64 v[89:90], v[64:65], s[22:23], -v[95:96]
	v_mul_f64 v[44:45], v[20:21], s[30:31]
	v_add_f64 v[12:13], v[24:25], v[12:13]
	v_fma_f64 v[24:25], v[70:71], s[20:21], -v[26:27]
	v_add_f64 v[18:19], v[30:31], v[18:19]
	v_fma_f64 v[26:27], v[76:77], s[16:17], v[28:29]
	v_mul_f64 v[28:29], v[86:87], s[18:19]
	s_mov_b32 s26, 0xebaa3ed8
	v_mul_f64 v[36:37], v[62:63], s[30:31]
	s_mov_b32 s27, 0x3fbedb7d
	v_add_f64 v[14:15], v[89:90], v[14:15]
	v_fma_f64 v[89:90], v[58:59], s[26:27], -v[44:45]
	v_add_f64 v[12:13], v[24:25], v[12:13]
	v_fma_f64 v[16:17], v[66:67], s[22:23], -v[16:17]
	v_add_f64 v[18:19], v[26:27], v[18:19]
	v_fma_f64 v[22:23], v[68:69], s[20:21], v[22:23]
	v_fma_f64 v[24:25], v[38:39], s[16:17], v[28:29]
	v_mul_f64 v[26:27], v[50:51], s[30:31]
	v_fma_f64 v[30:31], v[60:61], s[26:27], v[36:37]
	v_mul_f64 v[91:92], v[34:35], s[18:19]
	s_mov_b32 s35, 0xbfea55e2
	s_mov_b32 s34, s40
	v_add_f64 v[4:5], v[8:9], v[4:5]
	v_add_f64 v[8:9], v[89:90], v[14:15]
	;; [unrolled: 1-line block ×4, first 2 shown]
	v_fma_f64 v[16:17], v[64:65], s[22:23], v[95:96]
	v_add_f64 v[18:19], v[2:3], v[24:25]
	v_fma_f64 v[22:23], v[46:47], s[26:27], v[26:27]
	v_mul_f64 v[89:90], v[84:85], s[34:35]
	v_add_f64 v[10:11], v[30:31], v[10:11]
	v_fma_f64 v[24:25], v[32:33], s[16:17], -v[91:92]
	v_mul_f64 v[30:31], v[42:43], s[30:31]
	v_mul_f64 v[93:94], v[48:49], s[34:35]
	v_add_f64 v[16:17], v[16:17], v[14:15]
	v_fma_f64 v[14:15], v[60:61], s[26:27], -v[36:37]
	v_fma_f64 v[36:37], v[58:59], s[26:27], v[44:45]
	v_add_f64 v[18:19], v[22:23], v[18:19]
	v_fma_f64 v[22:23], v[78:79], s[20:21], v[89:90]
	v_add_f64 v[24:25], v[0:1], v[24:25]
	v_fma_f64 v[44:45], v[40:41], s[26:27], -v[30:31]
	s_mov_b32 s43, 0x3fcea1e5
	s_mov_b32 s42, s8
	v_mul_f64 v[95:96], v[82:83], s[42:43]
	v_add_f64 v[14:15], v[14:15], v[12:13]
	v_add_f64 v[12:13], v[36:37], v[16:17]
	;; [unrolled: 1-line block ×3, first 2 shown]
	v_fma_f64 v[18:19], v[38:39], s[16:17], -v[28:29]
	v_fma_f64 v[28:29], v[32:33], s[16:17], v[91:92]
	v_add_f64 v[24:25], v[44:45], v[24:25]
	v_fma_f64 v[44:45], v[76:77], s[20:21], -v[93:94]
	v_mul_f64 v[97:98], v[80:81], s[42:43]
	v_fma_f64 v[22:23], v[70:71], s[6:7], v[95:96]
	v_mul_f64 v[36:37], v[74:75], s[28:29]
	v_fma_f64 v[26:27], v[46:47], s[26:27], -v[26:27]
	v_add_f64 v[18:19], v[2:3], v[18:19]
	v_fma_f64 v[30:31], v[40:41], s[26:27], v[30:31]
	v_add_f64 v[28:29], v[0:1], v[28:29]
	v_add_f64 v[24:25], v[44:45], v[24:25]
	v_fma_f64 v[44:45], v[68:69], s[6:7], -v[97:98]
	v_mul_f64 v[91:92], v[72:73], s[28:29]
	v_add_f64 v[16:17], v[22:23], v[16:17]
	v_fma_f64 v[22:23], v[66:67], s[14:15], v[36:37]
	v_add_f64 v[18:19], v[26:27], v[18:19]
	v_fma_f64 v[26:27], v[78:79], s[20:21], -v[89:90]
	v_add_f64 v[28:29], v[30:31], v[28:29]
	v_fma_f64 v[30:31], v[76:77], s[20:21], v[93:94]
	v_mul_f64 v[89:90], v[86:87], s[24:25]
	v_add_f64 v[24:25], v[44:45], v[24:25]
	v_fma_f64 v[44:45], v[64:65], s[14:15], -v[91:92]
	v_mul_f64 v[99:100], v[62:63], s[24:25]
	s_mov_b32 s39, 0x3fe5384d
	s_mov_b32 s38, s18
	v_add_f64 v[16:17], v[22:23], v[16:17]
	v_mul_f64 v[22:23], v[20:21], s[24:25]
	v_add_f64 v[18:19], v[26:27], v[18:19]
	v_fma_f64 v[26:27], v[70:71], s[6:7], -v[95:96]
	v_add_f64 v[28:29], v[30:31], v[28:29]
	v_fma_f64 v[30:31], v[68:69], s[6:7], v[97:98]
	v_fma_f64 v[95:96], v[38:39], s[22:23], v[89:90]
	v_mul_f64 v[97:98], v[50:51], s[38:39]
	v_add_f64 v[24:25], v[44:45], v[24:25]
	v_fma_f64 v[44:45], v[60:61], s[22:23], v[99:100]
	v_fma_f64 v[93:94], v[58:59], s[22:23], -v[22:23]
	v_add_f64 v[26:27], v[26:27], v[18:19]
	v_fma_f64 v[36:37], v[66:67], s[14:15], -v[36:37]
	v_add_f64 v[28:29], v[30:31], v[28:29]
	v_fma_f64 v[30:31], v[64:65], s[14:15], v[91:92]
	v_add_f64 v[91:92], v[2:3], v[95:96]
	v_fma_f64 v[95:96], v[46:47], s[16:17], v[97:98]
	v_mul_f64 v[101:102], v[84:85], s[28:29]
	v_add_f64 v[18:19], v[44:45], v[16:17]
	v_mul_f64 v[44:45], v[34:35], s[24:25]
	s_mov_b32 s37, 0xbfefc445
	s_mov_b32 s36, s30
	v_add_f64 v[16:17], v[93:94], v[24:25]
	v_add_f64 v[24:25], v[36:37], v[26:27]
	;; [unrolled: 1-line block ×3, first 2 shown]
	v_fma_f64 v[28:29], v[60:61], s[22:23], -v[99:100]
	v_add_f64 v[91:92], v[95:96], v[91:92]
	v_fma_f64 v[93:94], v[78:79], s[14:15], v[101:102]
	v_mul_f64 v[95:96], v[82:83], s[36:37]
	v_fma_f64 v[30:31], v[32:33], s[22:23], -v[44:45]
	v_mul_f64 v[36:37], v[42:43], s[38:39]
	v_fma_f64 v[89:90], v[38:39], s[22:23], -v[89:90]
	v_fma_f64 v[44:45], v[32:33], s[22:23], v[44:45]
	v_add_f64 v[24:25], v[28:29], v[24:25]
	v_mul_f64 v[103:104], v[48:49], s[28:29]
	v_add_f64 v[28:29], v[93:94], v[91:92]
	v_fma_f64 v[91:92], v[70:71], s[26:27], v[95:96]
	v_mul_f64 v[93:94], v[74:75], s[42:43]
	v_add_f64 v[30:31], v[0:1], v[30:31]
	v_fma_f64 v[99:100], v[40:41], s[16:17], -v[36:37]
	v_fma_f64 v[22:23], v[58:59], s[22:23], v[22:23]
	v_fma_f64 v[97:98], v[46:47], s[16:17], -v[97:98]
	v_add_f64 v[89:90], v[2:3], v[89:90]
	v_fma_f64 v[36:37], v[40:41], s[16:17], v[36:37]
	v_add_f64 v[44:45], v[0:1], v[44:45]
	v_add_f64 v[28:29], v[91:92], v[28:29]
	v_fma_f64 v[91:92], v[66:67], s[6:7], v[93:94]
	v_add_f64 v[30:31], v[99:100], v[30:31]
	v_fma_f64 v[99:100], v[76:77], s[14:15], -v[103:104]
	v_mul_f64 v[105:106], v[80:81], s[36:37]
	v_add_f64 v[22:23], v[22:23], v[26:27]
	v_add_f64 v[26:27], v[97:98], v[89:90]
	v_fma_f64 v[89:90], v[78:79], s[14:15], -v[101:102]
	v_add_f64 v[36:37], v[36:37], v[44:45]
	v_fma_f64 v[44:45], v[76:77], s[14:15], v[103:104]
	v_add_f64 v[28:29], v[91:92], v[28:29]
	v_mul_f64 v[91:92], v[86:87], s[36:37]
	v_add_f64 v[30:31], v[99:100], v[30:31]
	v_fma_f64 v[99:100], v[68:69], s[26:27], -v[105:106]
	v_mul_f64 v[101:102], v[50:51], s[8:9]
	v_add_f64 v[26:27], v[89:90], v[26:27]
	v_fma_f64 v[89:90], v[70:71], s[26:27], -v[95:96]
	v_add_f64 v[36:37], v[44:45], v[36:37]
	v_fma_f64 v[44:45], v[68:69], s[26:27], v[105:106]
	v_fma_f64 v[95:96], v[38:39], s[26:27], v[91:92]
	v_mul_f64 v[107:108], v[20:21], s[40:41]
	v_add_f64 v[30:31], v[99:100], v[30:31]
	v_mul_f64 v[99:100], v[62:63], s[40:41]
	s_mov_b32 s41, 0x3fedeba7
	s_mov_b32 s40, s24
	v_mul_f64 v[97:98], v[72:73], s[42:43]
	v_add_f64 v[26:27], v[89:90], v[26:27]
	v_fma_f64 v[89:90], v[66:67], s[6:7], -v[93:94]
	v_add_f64 v[36:37], v[44:45], v[36:37]
	v_add_f64 v[44:45], v[2:3], v[95:96]
	v_fma_f64 v[93:94], v[46:47], s[6:7], v[101:102]
	v_mul_f64 v[95:96], v[84:85], s[40:41]
	v_mul_f64 v[109:110], v[34:35], s[36:37]
	v_fma_f64 v[103:104], v[64:65], s[6:7], -v[97:98]
	v_fma_f64 v[97:98], v[64:65], s[6:7], v[97:98]
	v_add_f64 v[89:90], v[89:90], v[26:27]
	v_fma_f64 v[105:106], v[60:61], s[20:21], v[99:100]
	v_fma_f64 v[91:92], v[38:39], s[26:27], -v[91:92]
	v_add_f64 v[26:27], v[93:94], v[44:45]
	v_fma_f64 v[44:45], v[78:79], s[22:23], v[95:96]
	v_fma_f64 v[93:94], v[32:33], s[26:27], -v[109:110]
	v_mul_f64 v[111:112], v[48:49], s[40:41]
	v_add_f64 v[36:37], v[97:98], v[36:37]
	v_mul_f64 v[97:98], v[42:43], s[8:9]
	v_add_f64 v[28:29], v[105:106], v[28:29]
	v_mul_f64 v[105:106], v[82:83], s[28:29]
	v_fma_f64 v[101:102], v[46:47], s[6:7], -v[101:102]
	v_add_f64 v[26:27], v[44:45], v[26:27]
	v_fma_f64 v[44:45], v[32:33], s[26:27], v[109:110]
	v_add_f64 v[93:94], v[0:1], v[93:94]
	v_add_f64 v[91:92], v[2:3], v[91:92]
	v_fma_f64 v[109:110], v[40:41], s[6:7], -v[97:98]
	v_fma_f64 v[97:98], v[40:41], s[6:7], v[97:98]
	v_fma_f64 v[113:114], v[70:71], s[14:15], v[105:106]
	v_mul_f64 v[115:116], v[74:75], s[34:35]
	v_mul_f64 v[117:118], v[80:81], s[28:29]
	v_add_f64 v[44:45], v[0:1], v[44:45]
	v_fma_f64 v[95:96], v[78:79], s[22:23], -v[95:96]
	v_add_f64 v[91:92], v[101:102], v[91:92]
	v_add_f64 v[93:94], v[109:110], v[93:94]
	v_fma_f64 v[109:110], v[76:77], s[22:23], -v[111:112]
	v_add_f64 v[26:27], v[113:114], v[26:27]
	v_fma_f64 v[101:102], v[66:67], s[20:21], v[115:116]
	v_mul_f64 v[113:114], v[62:63], s[18:19]
	v_add_f64 v[44:45], v[97:98], v[44:45]
	v_fma_f64 v[97:98], v[76:77], s[22:23], v[111:112]
	v_mul_f64 v[111:112], v[72:73], s[34:35]
	v_add_f64 v[91:92], v[95:96], v[91:92]
	v_add_f64 v[93:94], v[109:110], v[93:94]
	v_fma_f64 v[109:110], v[68:69], s[14:15], -v[117:118]
	v_fma_f64 v[95:96], v[70:71], s[14:15], -v[105:106]
	v_add_f64 v[30:31], v[103:104], v[30:31]
	v_fma_f64 v[103:104], v[58:59], s[20:21], -v[107:108]
	v_add_f64 v[44:45], v[97:98], v[44:45]
	v_fma_f64 v[97:98], v[68:69], s[14:15], v[117:118]
	v_fma_f64 v[99:100], v[60:61], s[20:21], -v[99:100]
	v_fma_f64 v[107:108], v[58:59], s[20:21], v[107:108]
	v_add_f64 v[101:102], v[101:102], v[26:27]
	v_add_f64 v[93:94], v[109:110], v[93:94]
	v_fma_f64 v[105:106], v[64:65], s[20:21], -v[111:112]
	v_fma_f64 v[109:110], v[60:61], s[16:17], v[113:114]
	v_mul_f64 v[117:118], v[20:21], s[18:19]
	v_add_f64 v[119:120], v[95:96], v[91:92]
	v_fma_f64 v[115:116], v[66:67], s[20:21], -v[115:116]
	v_add_f64 v[44:45], v[97:98], v[44:45]
	v_fma_f64 v[97:98], v[64:65], s[20:21], v[111:112]
	v_add_f64 v[26:27], v[103:104], v[30:31]
	v_add_f64 v[91:92], v[99:100], v[89:90]
	;; [unrolled: 1-line block ×5, first 2 shown]
	v_fma_f64 v[36:37], v[58:59], s[16:17], -v[117:118]
	v_add_f64 v[99:100], v[115:116], v[119:120]
	v_add_f64 v[44:45], v[97:98], v[44:45]
	v_fma_f64 v[97:98], v[60:61], s[16:17], -v[113:114]
	v_fma_f64 v[101:102], v[58:59], s[16:17], v[117:118]
	v_mul_f64 v[105:106], v[86:87], s[34:35]
	v_mul_f64 v[103:104], v[62:63], s[28:29]
	;; [unrolled: 1-line block ×3, first 2 shown]
	s_mov_b32 s29, 0xbfddbe06
	v_mul_f64 v[86:87], v[86:87], s[28:29]
	v_mul_f64 v[109:110], v[34:35], s[34:35]
	v_add_f64 v[93:94], v[36:37], v[30:31]
	v_add_f64 v[99:100], v[97:98], v[99:100]
	;; [unrolled: 1-line block ×3, first 2 shown]
	v_fma_f64 v[30:31], v[38:39], s[20:21], v[105:106]
	v_mul_f64 v[44:45], v[50:51], s[24:25]
	v_fma_f64 v[36:37], v[38:39], s[20:21], -v[105:106]
	v_fma_f64 v[101:102], v[38:39], s[14:15], v[86:87]
	v_fma_f64 v[105:106], v[32:33], s[20:21], -v[109:110]
	v_fma_f64 v[38:39], v[38:39], s[14:15], -v[86:87]
	v_mul_f64 v[34:35], v[34:35], s[28:29]
	v_fma_f64 v[86:87], v[32:33], s[20:21], v[109:110]
	v_add_f64 v[30:31], v[2:3], v[30:31]
	v_fma_f64 v[109:110], v[46:47], s[22:23], v[44:45]
	v_mul_f64 v[113:114], v[84:85], s[8:9]
	v_mul_f64 v[111:112], v[42:43], s[24:25]
	v_add_f64 v[105:106], v[0:1], v[105:106]
	v_mul_f64 v[117:118], v[48:49], s[8:9]
	v_fma_f64 v[119:120], v[32:33], s[14:15], -v[34:35]
	v_fma_f64 v[32:33], v[32:33], s[14:15], v[34:35]
	v_add_f64 v[34:35], v[2:3], v[36:37]
	v_add_f64 v[30:31], v[109:110], v[30:31]
	v_fma_f64 v[36:37], v[78:79], s[6:7], v[113:114]
	v_mul_f64 v[109:110], v[82:83], s[38:39]
	v_fma_f64 v[115:116], v[40:41], s[22:23], -v[111:112]
	v_mul_f64 v[123:124], v[74:75], s[30:31]
	v_mul_f64 v[121:122], v[80:81], s[38:39]
	;; [unrolled: 1-line block ×3, first 2 shown]
	v_add_f64 v[86:87], v[0:1], v[86:87]
	v_add_f64 v[119:120], v[0:1], v[119:120]
	;; [unrolled: 1-line block ×3, first 2 shown]
	v_fma_f64 v[36:37], v[70:71], s[16:17], v[109:110]
	v_add_f64 v[105:106], v[115:116], v[105:106]
	v_fma_f64 v[115:116], v[76:77], s[6:7], -v[117:118]
	v_add_f64 v[0:1], v[0:1], v[32:33]
	v_fma_f64 v[32:33], v[40:41], s[22:23], v[111:112]
	v_add_f64 v[101:102], v[2:3], v[101:102]
	v_mul_f64 v[125:126], v[72:73], s[30:31]
	v_add_f64 v[2:3], v[2:3], v[38:39]
	v_add_f64 v[30:31], v[36:37], v[30:31]
	v_fma_f64 v[36:37], v[66:67], s[26:27], v[123:124]
	v_add_f64 v[105:106], v[115:116], v[105:106]
	v_fma_f64 v[115:116], v[68:69], s[16:17], -v[121:122]
	v_fma_f64 v[38:39], v[46:47], s[22:23], -v[44:45]
	v_mul_f64 v[84:85], v[84:85], s[36:37]
	v_add_f64 v[32:33], v[32:33], v[86:87]
	v_fma_f64 v[86:87], v[76:77], s[6:7], v[117:118]
	v_mul_f64 v[42:43], v[42:43], s[34:35]
	v_add_f64 v[30:31], v[36:37], v[30:31]
	v_fma_f64 v[36:37], v[46:47], s[20:21], -v[50:51]
	v_add_f64 v[44:45], v[115:116], v[105:106]
	v_fma_f64 v[105:106], v[64:65], s[26:27], -v[125:126]
	;; [unrolled: 2-line block ×3, first 2 shown]
	v_mul_f64 v[82:83], v[82:83], s[24:25]
	v_add_f64 v[32:33], v[86:87], v[32:33]
	v_fma_f64 v[86:87], v[40:41], s[20:21], v[42:43]
	v_add_f64 v[2:3], v[36:37], v[2:3]
	v_fma_f64 v[36:37], v[78:79], s[26:27], -v[84:85]
	v_mul_f64 v[48:49], v[48:49], s[36:37]
	v_add_f64 v[44:45], v[105:106], v[44:45]
	v_add_f64 v[34:35], v[38:39], v[34:35]
	v_fma_f64 v[38:39], v[70:71], s[16:17], -v[109:110]
	v_fma_f64 v[105:106], v[68:69], s[16:17], v[121:122]
	v_fma_f64 v[46:47], v[46:47], s[20:21], v[50:51]
	v_fma_f64 v[40:41], v[40:41], s[20:21], -v[42:43]
	v_add_f64 v[2:3], v[36:37], v[2:3]
	v_fma_f64 v[36:37], v[70:71], s[22:23], -v[82:83]
	v_add_f64 v[0:1], v[86:87], v[0:1]
	v_fma_f64 v[86:87], v[76:77], s[26:27], v[48:49]
	v_mul_f64 v[80:81], v[80:81], s[24:25]
	v_mul_f64 v[50:51], v[74:75], s[18:19]
	v_add_f64 v[34:35], v[38:39], v[34:35]
	v_fma_f64 v[38:39], v[66:67], s[26:27], -v[123:124]
	v_add_f64 v[32:33], v[105:106], v[32:33]
	v_fma_f64 v[105:106], v[64:65], s[26:27], v[125:126]
	v_add_f64 v[2:3], v[36:37], v[2:3]
	v_fma_f64 v[36:37], v[78:79], s[26:27], v[84:85]
	v_add_f64 v[46:47], v[46:47], v[101:102]
	v_fma_f64 v[48:49], v[76:77], s[26:27], -v[48:49]
	v_add_f64 v[40:41], v[40:41], v[119:120]
	v_add_f64 v[0:1], v[86:87], v[0:1]
	v_fma_f64 v[42:43], v[68:69], s[22:23], v[80:81]
	v_mul_f64 v[72:73], v[72:73], s[18:19]
	v_fma_f64 v[74:75], v[66:67], s[16:17], -v[50:51]
	v_add_f64 v[34:35], v[38:39], v[34:35]
	v_fma_f64 v[38:39], v[70:71], s[22:23], v[82:83]
	v_add_f64 v[36:37], v[36:37], v[46:47]
	v_add_f64 v[46:47], v[105:106], v[32:33]
	v_fma_f64 v[32:33], v[68:69], s[22:23], -v[80:81]
	v_add_f64 v[40:41], v[48:49], v[40:41]
	v_add_f64 v[0:1], v[42:43], v[0:1]
	v_fma_f64 v[42:43], v[64:65], s[16:17], v[72:73]
	v_add_f64 v[48:49], v[74:75], v[2:3]
	v_mul_f64 v[2:3], v[62:63], s[8:9]
	v_mul_f64 v[20:21], v[20:21], s[8:9]
	v_add_f64 v[36:37], v[38:39], v[36:37]
	v_fma_f64 v[38:39], v[64:65], s[16:17], -v[72:73]
	v_add_f64 v[32:33], v[32:33], v[40:41]
	v_fma_f64 v[40:41], v[60:61], s[14:15], v[103:104]
	v_add_f64 v[0:1], v[42:43], v[0:1]
	v_fma_f64 v[42:43], v[66:67], s[16:17], v[50:51]
	v_fma_f64 v[50:51], v[60:61], s[14:15], -v[103:104]
	v_fma_f64 v[62:63], v[60:61], s[6:7], -v[2:3]
	v_fma_f64 v[64:65], v[58:59], s[6:7], v[20:21]
	v_fma_f64 v[66:67], v[58:59], s[14:15], v[107:108]
	v_fma_f64 v[20:21], v[58:59], s[6:7], -v[20:21]
	v_add_f64 v[38:39], v[38:39], v[32:33]
	v_fma_f64 v[60:61], v[60:61], s[6:7], v[2:3]
	v_add_f64 v[42:43], v[42:43], v[36:37]
	v_fma_f64 v[68:69], v[58:59], s[14:15], -v[107:108]
	v_add_f64 v[32:33], v[50:51], v[34:35]
	v_add_f64 v[36:37], v[62:63], v[48:49]
	;; [unrolled: 1-line block ×5, first 2 shown]
	s_movk_i32 s6, 0xc0
	v_add_f64 v[38:39], v[20:21], v[38:39]
	v_mad_u32_u24 v20, v54, s6, v88
	v_add_f64 v[0:1], v[68:69], v[44:45]
	v_add_f64 v[40:41], v[60:61], v[42:43]
	ds_write_b128 v20, v[4:7]
	ds_write_b128 v20, v[34:37] offset:16
	ds_write_b128 v20, v[30:33] offset:32
	;; [unrolled: 1-line block ×12, first 2 shown]
.LBB0_15:
	s_or_b64 exec, exec, s[4:5]
	s_movk_i32 s4, 0x4f
	v_mul_lo_u16_sdwa v2, v54, s4 dst_sel:DWORD dst_unused:UNUSED_PAD src0_sel:BYTE_0 src1_sel:DWORD
	v_lshrrev_b16_e32 v55, 10, v2
	v_mul_lo_u16_e32 v2, 13, v55
	v_sub_u16_e32 v105, v54, v2
	v_mov_b32_e32 v2, 5
	v_add_u32_e32 v1, 0x9c, v54
	v_lshlrev_b32_sdwa v10, v2, v105 dst_sel:DWORD dst_unused:UNUSED_PAD src0_sel:DWORD src1_sel:BYTE_0
	s_movk_i32 s4, 0x4ec5
	s_load_dwordx2 s[2:3], s[2:3], 0x0
	s_waitcnt lgkmcnt(0)
	s_barrier
	global_load_dwordx4 v[2:5], v10, s[12:13] offset:16
	global_load_dwordx4 v[6:9], v10, s[12:13]
	v_mul_u32_u24_sdwa v10, v1, s4 dst_sel:DWORD dst_unused:UNUSED_PAD src0_sel:WORD_0 src1_sel:DWORD
	v_lshrrev_b32_e32 v106, 18, v10
	v_mul_lo_u16_e32 v10, 13, v106
	v_sub_u16_e32 v107, v1, v10
	v_add_u32_e32 v0, 0x138, v54
	v_lshlrev_b32_e32 v18, 5, v107
	global_load_dwordx4 v[10:13], v18, s[12:13] offset:16
	global_load_dwordx4 v[14:17], v18, s[12:13]
	v_mul_u32_u24_sdwa v18, v0, s4 dst_sel:DWORD dst_unused:UNUSED_PAD src0_sel:WORD_0 src1_sel:DWORD
	v_lshrrev_b32_e32 v108, 18, v18
	v_mul_lo_u16_e32 v18, 13, v108
	v_sub_u16_e32 v109, v0, v18
	v_lshlrev_b32_e32 v27, 5, v109
	global_load_dwordx4 v[18:21], v27, s[12:13] offset:16
	global_load_dwordx4 v[22:25], v27, s[12:13]
	v_add_u32_e32 v26, 0x1d4, v54
	v_mul_u32_u24_sdwa v27, v26, s4 dst_sel:DWORD dst_unused:UNUSED_PAD src0_sel:WORD_0 src1_sel:DWORD
	v_lshrrev_b32_e32 v110, 18, v27
	v_mul_lo_u16_e32 v27, 13, v110
	v_sub_u16_e32 v111, v26, v27
	v_lshlrev_b32_e32 v34, 5, v111
	global_load_dwordx4 v[26:29], v34, s[12:13]
	global_load_dwordx4 v[30:33], v34, s[12:13] offset:16
	ds_read_b128 v[34:37], v88
	ds_read_b128 v[38:41], v88 offset:2496
	ds_read_b128 v[42:45], v88 offset:9984
	;; [unrolled: 1-line block ×11, first 2 shown]
	s_mov_b32 s4, 0xe8584caa
	s_mov_b32 s5, 0xbfebb67a
	;; [unrolled: 1-line block ×4, first 2 shown]
	s_waitcnt vmcnt(0) lgkmcnt(0)
	s_barrier
	s_movk_i32 s8, 0xa5
	v_mul_f64 v[86:87], v[60:61], v[4:5]
	v_mul_f64 v[50:51], v[44:45], v[8:9]
	v_mul_f64 v[8:9], v[42:43], v[8:9]
	v_mul_f64 v[4:5], v[58:59], v[4:5]
	v_mul_f64 v[95:96], v[64:65], v[12:13]
	v_mul_f64 v[93:94], v[48:49], v[16:17]
	v_mul_f64 v[16:17], v[46:47], v[16:17]
	v_mul_f64 v[12:13], v[62:63], v[12:13]
	v_fma_f64 v[42:43], v[42:43], v[6:7], v[50:51]
	v_fma_f64 v[6:7], v[44:45], v[6:7], -v[8:9]
	v_mul_f64 v[99:100], v[84:85], v[20:21]
	v_mul_f64 v[97:98], v[76:77], v[24:25]
	;; [unrolled: 1-line block ×4, first 2 shown]
	v_fma_f64 v[4:5], v[60:61], v[2:3], -v[4:5]
	v_mul_f64 v[101:102], v[80:81], v[28:29]
	v_mul_f64 v[28:29], v[78:79], v[28:29]
	;; [unrolled: 1-line block ×4, first 2 shown]
	v_fma_f64 v[32:33], v[58:59], v[2:3], v[86:87]
	v_fma_f64 v[2:3], v[46:47], v[14:15], v[93:94]
	v_fma_f64 v[14:15], v[48:49], v[14:15], -v[16:17]
	v_fma_f64 v[16:17], v[62:63], v[10:11], v[95:96]
	v_fma_f64 v[44:45], v[74:75], v[22:23], v[97:98]
	;; [unrolled: 1-line block ×3, first 2 shown]
	v_fma_f64 v[10:11], v[64:65], v[10:11], -v[12:13]
	v_fma_f64 v[46:47], v[76:77], v[22:23], -v[24:25]
	;; [unrolled: 1-line block ×3, first 2 shown]
	v_fma_f64 v[58:59], v[78:79], v[26:27], v[101:102]
	v_fma_f64 v[28:29], v[80:81], v[26:27], -v[28:29]
	v_fma_f64 v[62:63], v[91:92], v[30:31], -v[8:9]
	v_add_f64 v[8:9], v[34:35], v[42:43]
	v_add_f64 v[12:13], v[42:43], v[32:33]
	v_add_f64 v[18:19], v[6:7], -v[4:5]
	v_add_f64 v[20:21], v[36:37], v[6:7]
	v_add_f64 v[6:7], v[6:7], v[4:5]
	;; [unrolled: 1-line block ×5, first 2 shown]
	v_fma_f64 v[60:61], v[89:90], v[30:31], v[103:104]
	v_add_f64 v[22:23], v[42:43], -v[32:33]
	v_add_f64 v[30:31], v[14:15], -v[10:11]
	v_add_f64 v[42:43], v[40:41], v[14:15]
	v_add_f64 v[14:15], v[14:15], v[10:11]
	v_add_f64 v[64:65], v[2:3], -v[16:17]
	v_add_f64 v[78:79], v[46:47], -v[50:51]
	v_add_f64 v[2:3], v[8:9], v[32:33]
	v_fma_f64 v[12:13], v[12:13], -0.5, v[34:35]
	v_add_f64 v[4:5], v[20:21], v[4:5]
	v_fma_f64 v[20:21], v[6:7], -0.5, v[36:37]
	v_add_f64 v[6:7], v[24:25], v[16:17]
	v_fma_f64 v[24:25], v[26:27], -0.5, v[38:39]
	v_fma_f64 v[32:33], v[76:77], -0.5, v[66:67]
	v_add_f64 v[80:81], v[46:47], v[50:51]
	v_fma_f64 v[26:27], v[14:15], -0.5, v[40:41]
	v_add_f64 v[74:75], v[66:67], v[44:45]
	v_add_f64 v[8:9], v[42:43], v[10:11]
	v_fma_f64 v[10:11], v[18:19], s[4:5], v[12:13]
	v_fma_f64 v[14:15], v[18:19], s[6:7], v[12:13]
	v_fma_f64 v[12:13], v[22:23], s[6:7], v[20:21]
	v_fma_f64 v[16:17], v[22:23], s[4:5], v[20:21]
	v_fma_f64 v[18:19], v[30:31], s[4:5], v[24:25]
	v_fma_f64 v[22:23], v[30:31], s[6:7], v[24:25]
	v_add_f64 v[36:37], v[58:59], v[60:61]
	v_fma_f64 v[30:31], v[78:79], s[4:5], v[32:33]
	v_fma_f64 v[34:35], v[78:79], s[6:7], v[32:33]
	v_add_f64 v[32:33], v[28:29], v[62:63]
	v_add_f64 v[38:39], v[68:69], v[46:47]
	v_fma_f64 v[40:41], v[80:81], -0.5, v[68:69]
	v_add_f64 v[42:43], v[44:45], -v[48:49]
	v_fma_f64 v[20:21], v[64:65], s[6:7], v[26:27]
	v_fma_f64 v[24:25], v[64:65], s[4:5], v[26:27]
	v_add_f64 v[44:45], v[70:71], v[58:59]
	v_add_f64 v[64:65], v[72:73], v[28:29]
	;; [unrolled: 1-line block ×3, first 2 shown]
	v_fma_f64 v[46:47], v[36:37], -0.5, v[70:71]
	v_add_f64 v[48:49], v[28:29], -v[62:63]
	v_fma_f64 v[66:67], v[32:33], -0.5, v[72:73]
	v_add_f64 v[58:59], v[58:59], -v[60:61]
	v_add_f64 v[28:29], v[38:39], v[50:51]
	v_fma_f64 v[32:33], v[42:43], s[6:7], v[40:41]
	v_mul_u32_u24_e32 v50, 0x270, v55
	v_mov_b32_e32 v55, 4
	v_fma_f64 v[36:37], v[42:43], s[4:5], v[40:41]
	v_add_f64 v[38:39], v[44:45], v[60:61]
	v_add_f64 v[40:41], v[64:65], v[62:63]
	v_lshlrev_b32_sdwa v51, v55, v105 dst_sel:DWORD dst_unused:UNUSED_PAD src0_sel:DWORD src1_sel:BYTE_0
	v_fma_f64 v[42:43], v[48:49], s[4:5], v[46:47]
	v_fma_f64 v[44:45], v[58:59], s[6:7], v[66:67]
	v_add3_u32 v50, 0, v50, v51
	v_fma_f64 v[46:47], v[48:49], s[6:7], v[46:47]
	v_fma_f64 v[48:49], v[58:59], s[4:5], v[66:67]
	ds_write_b128 v50, v[2:5]
	ds_write_b128 v50, v[10:13] offset:208
	ds_write_b128 v50, v[14:17] offset:416
	v_mul_u32_u24_e32 v2, 0x270, v106
	v_lshlrev_b32_e32 v3, 4, v107
	v_add3_u32 v2, 0, v2, v3
	ds_write_b128 v2, v[6:9]
	ds_write_b128 v2, v[18:21] offset:208
	ds_write_b128 v2, v[22:25] offset:416
	v_mul_u32_u24_e32 v2, 0x270, v108
	v_lshlrev_b32_e32 v3, 4, v109
	v_add3_u32 v2, 0, v2, v3
	;; [unrolled: 6-line block ×3, first 2 shown]
	ds_write_b128 v2, v[38:41]
	ds_write_b128 v2, v[42:45] offset:208
	ds_write_b128 v2, v[46:49] offset:416
	v_mul_lo_u16_sdwa v2, v54, s8 dst_sel:DWORD dst_unused:UNUSED_PAD src0_sel:BYTE_0 src1_sel:DWORD
	v_sub_u16_sdwa v3, v54, v2 dst_sel:DWORD dst_unused:UNUSED_PAD src0_sel:DWORD src1_sel:BYTE_1
	v_lshrrev_b16_e32 v3, 1, v3
	v_and_b32_e32 v3, 0x7f, v3
	v_add_u16_sdwa v2, v3, v2 dst_sel:DWORD dst_unused:UNUSED_PAD src0_sel:DWORD src1_sel:BYTE_1
	s_mov_b32 s8, 0xa41b
	v_lshrrev_b16_e32 v2, 5, v2
	v_mul_u32_u24_sdwa v11, v1, s8 dst_sel:DWORD dst_unused:UNUSED_PAD src0_sel:WORD_0 src1_sel:DWORD
	v_and_b32_e32 v99, 7, v2
	v_sub_u16_sdwa v12, v1, v11 dst_sel:DWORD dst_unused:UNUSED_PAD src0_sel:DWORD src1_sel:WORD_1
	v_mul_lo_u16_e32 v2, 39, v99
	v_lshrrev_b16_e32 v12, 1, v12
	v_sub_u16_e32 v100, v54, v2
	v_mov_b32_e32 v2, 3
	v_add_u16_sdwa v11, v12, v11 dst_sel:DWORD dst_unused:UNUSED_PAD src0_sel:DWORD src1_sel:WORD_1
	v_mul_u32_u24_sdwa v2, v100, v2 dst_sel:DWORD dst_unused:UNUSED_PAD src0_sel:BYTE_0 src1_sel:DWORD
	v_lshrrev_b16_e32 v101, 5, v11
	v_lshlrev_b32_e32 v10, 4, v2
	v_mul_lo_u16_e32 v11, 39, v101
	s_waitcnt lgkmcnt(0)
	s_barrier
	global_load_dwordx4 v[2:5], v10, s[12:13] offset:432
	global_load_dwordx4 v[6:9], v10, s[12:13] offset:416
	v_sub_u16_e32 v102, v1, v11
	global_load_dwordx4 v[10:13], v10, s[12:13] offset:448
	v_mul_u32_u24_e32 v1, 3, v102
	v_lshlrev_b32_e32 v1, 4, v1
	global_load_dwordx4 v[14:17], v1, s[12:13] offset:416
	global_load_dwordx4 v[18:21], v1, s[12:13] offset:432
	global_load_dwordx4 v[22:25], v1, s[12:13] offset:448
	v_mul_u32_u24_sdwa v1, v0, s8 dst_sel:DWORD dst_unused:UNUSED_PAD src0_sel:WORD_0 src1_sel:DWORD
	v_sub_u16_sdwa v26, v0, v1 dst_sel:DWORD dst_unused:UNUSED_PAD src0_sel:DWORD src1_sel:WORD_1
	v_lshrrev_b16_e32 v26, 1, v26
	v_add_u16_sdwa v1, v26, v1 dst_sel:DWORD dst_unused:UNUSED_PAD src0_sel:DWORD src1_sel:WORD_1
	v_lshrrev_b16_e32 v103, 5, v1
	v_mul_lo_u16_e32 v1, 39, v103
	v_sub_u16_e32 v104, v0, v1
	v_mul_u32_u24_e32 v0, 3, v104
	v_lshlrev_b32_e32 v0, 4, v0
	global_load_dwordx4 v[26:29], v0, s[12:13] offset:416
	global_load_dwordx4 v[30:33], v0, s[12:13] offset:432
	;; [unrolled: 1-line block ×3, first 2 shown]
	ds_read_b128 v[38:41], v88
	ds_read_b128 v[42:45], v88 offset:2496
	ds_read_b128 v[46:49], v88 offset:14976
	ds_read_b128 v[58:61], v88 offset:17472
	ds_read_b128 v[62:65], v88 offset:7488
	ds_read_b128 v[66:69], v88 offset:4992
	ds_read_b128 v[70:73], v88 offset:9984
	ds_read_b128 v[74:77], v88 offset:12480
	ds_read_b128 v[78:81], v88 offset:22464
	ds_read_b128 v[82:85], v88 offset:19968
	ds_read_b128 v[89:92], v88 offset:24960
	ds_read_b128 v[93:96], v88 offset:27456
	s_movk_i32 s8, 0x9c0
	s_waitcnt vmcnt(0) lgkmcnt(0)
	s_barrier
	v_mul_f64 v[50:51], v[48:49], v[4:5]
	v_mul_f64 v[0:1], v[64:65], v[8:9]
	;; [unrolled: 1-line block ×8, first 2 shown]
	v_fma_f64 v[0:1], v[62:63], v[6:7], v[0:1]
	v_fma_f64 v[6:7], v[64:65], v[6:7], -v[8:9]
	v_fma_f64 v[8:9], v[46:47], v[2:3], v[50:51]
	v_fma_f64 v[2:3], v[48:49], v[2:3], -v[4:5]
	;; [unrolled: 2-line block ×4, first 2 shown]
	v_mul_f64 v[16:17], v[60:61], v[20:21]
	v_mul_f64 v[20:21], v[58:59], v[20:21]
	;; [unrolled: 1-line block ×4, first 2 shown]
	v_add_f64 v[48:49], v[38:39], -v[8:9]
	v_add_f64 v[8:9], v[6:7], -v[10:11]
	;; [unrolled: 1-line block ×4, first 2 shown]
	v_fma_f64 v[16:17], v[58:59], v[18:19], v[16:17]
	v_fma_f64 v[18:19], v[60:61], v[18:19], -v[20:21]
	v_fma_f64 v[20:21], v[89:90], v[22:23], v[46:47]
	v_fma_f64 v[22:23], v[91:92], v[22:23], -v[24:25]
	v_fma_f64 v[4:5], v[38:39], 2.0, -v[48:49]
	v_fma_f64 v[2:3], v[6:7], 2.0, -v[8:9]
	v_mul_f64 v[6:7], v[76:77], v[28:29]
	v_mul_f64 v[24:25], v[74:75], v[28:29]
	;; [unrolled: 1-line block ×6, first 2 shown]
	v_fma_f64 v[10:11], v[40:41], 2.0, -v[50:51]
	v_fma_f64 v[0:1], v[0:1], 2.0, -v[62:63]
	v_fma_f64 v[40:41], v[74:75], v[26:27], v[6:7]
	v_fma_f64 v[24:25], v[76:77], v[26:27], -v[24:25]
	v_fma_f64 v[26:27], v[82:83], v[30:31], v[28:29]
	v_fma_f64 v[28:29], v[84:85], v[30:31], -v[32:33]
	;; [unrolled: 2-line block ×3, first 2 shown]
	v_add_f64 v[36:37], v[42:43], -v[16:17]
	v_add_f64 v[38:39], v[44:45], -v[18:19]
	v_add_f64 v[34:35], v[12:13], -v[20:21]
	v_add_f64 v[20:21], v[14:15], -v[22:23]
	v_add_f64 v[46:47], v[66:67], -v[26:27]
	v_add_f64 v[58:59], v[68:69], -v[28:29]
	v_add_f64 v[30:31], v[40:41], -v[30:31]
	v_add_f64 v[28:29], v[24:25], -v[32:33]
	v_add_f64 v[2:3], v[10:11], -v[2:3]
	v_fma_f64 v[32:33], v[42:43], 2.0, -v[36:37]
	v_fma_f64 v[42:43], v[44:45], 2.0, -v[38:39]
	;; [unrolled: 1-line block ×8, first 2 shown]
	v_add_f64 v[0:1], v[4:5], -v[0:1]
	v_fma_f64 v[6:7], v[10:11], 2.0, -v[2:3]
	v_add_f64 v[8:9], v[48:49], v[8:9]
	v_add_f64 v[10:11], v[50:51], -v[62:63]
	v_add_f64 v[16:17], v[32:33], -v[16:17]
	;; [unrolled: 1-line block ×3, first 2 shown]
	v_add_f64 v[20:21], v[36:37], v[20:21]
	v_add_f64 v[22:23], v[38:39], -v[34:35]
	v_add_f64 v[24:25], v[44:45], -v[26:27]
	;; [unrolled: 1-line block ×3, first 2 shown]
	v_add_f64 v[28:29], v[46:47], v[28:29]
	v_add_f64 v[30:31], v[58:59], -v[30:31]
	v_fma_f64 v[4:5], v[4:5], 2.0, -v[0:1]
	v_fma_f64 v[12:13], v[48:49], 2.0, -v[8:9]
	v_fma_f64 v[14:15], v[50:51], 2.0, -v[10:11]
	v_fma_f64 v[32:33], v[32:33], 2.0, -v[16:17]
	v_fma_f64 v[34:35], v[42:43], 2.0, -v[18:19]
	v_fma_f64 v[36:37], v[36:37], 2.0, -v[20:21]
	v_fma_f64 v[38:39], v[38:39], 2.0, -v[22:23]
	v_fma_f64 v[40:41], v[44:45], 2.0, -v[24:25]
	v_fma_f64 v[42:43], v[60:61], 2.0, -v[26:27]
	v_fma_f64 v[44:45], v[46:47], 2.0, -v[28:29]
	v_fma_f64 v[46:47], v[58:59], 2.0, -v[30:31]
	v_mul_u32_u24_sdwa v48, v99, s8 dst_sel:DWORD dst_unused:UNUSED_PAD src0_sel:WORD_0 src1_sel:DWORD
	v_lshlrev_b32_sdwa v49, v55, v100 dst_sel:DWORD dst_unused:UNUSED_PAD src0_sel:DWORD src1_sel:BYTE_0
	v_add3_u32 v48, 0, v48, v49
	ds_write_b128 v48, v[4:7]
	ds_write_b128 v48, v[12:15] offset:624
	ds_write_b128 v48, v[0:3] offset:1248
	ds_write_b128 v48, v[8:11] offset:1872
	v_mul_u32_u24_e32 v0, 0x9c0, v101
	v_lshlrev_b32_e32 v1, 4, v102
	v_add3_u32 v0, 0, v0, v1
	ds_write_b128 v0, v[32:35]
	ds_write_b128 v0, v[36:39] offset:624
	ds_write_b128 v0, v[16:19] offset:1248
	ds_write_b128 v0, v[20:23] offset:1872
	v_mul_u32_u24_e32 v0, 0x9c0, v103
	v_lshlrev_b32_e32 v1, 4, v104
	v_add3_u32 v0, 0, v0, v1
	ds_write_b128 v0, v[40:43]
	ds_write_b128 v0, v[44:47] offset:624
	ds_write_b128 v0, v[24:27] offset:1248
	ds_write_b128 v0, v[28:31] offset:1872
	v_mul_u32_u24_e32 v0, 5, v54
	v_lshlrev_b32_e32 v20, 4, v0
	s_waitcnt lgkmcnt(0)
	s_barrier
	global_load_dwordx4 v[0:3], v20, s[12:13] offset:2288
	global_load_dwordx4 v[4:7], v20, s[12:13] offset:2304
	;; [unrolled: 1-line block ×5, first 2 shown]
	ds_read_b128 v[20:23], v88
	ds_read_b128 v[24:27], v88 offset:2496
	ds_read_b128 v[28:31], v88 offset:4992
	;; [unrolled: 1-line block ×11, first 2 shown]
	v_mov_b32_e32 v55, 0
	s_waitcnt vmcnt(0) lgkmcnt(0)
	s_barrier
	v_mul_f64 v[74:75], v[30:31], v[2:3]
	v_mul_f64 v[76:77], v[28:29], v[2:3]
	;; [unrolled: 1-line block ×5, first 2 shown]
	v_fma_f64 v[28:29], v[28:29], v[0:1], v[74:75]
	v_mul_f64 v[74:75], v[44:45], v[10:11]
	v_fma_f64 v[30:31], v[30:31], v[0:1], -v[76:77]
	v_mul_f64 v[76:77], v[60:61], v[14:15]
	v_fma_f64 v[44:45], v[44:45], v[8:9], v[82:83]
	v_mul_f64 v[82:83], v[66:67], v[18:19]
	v_fma_f64 v[36:37], v[36:37], v[4:5], v[78:79]
	v_mul_f64 v[78:79], v[58:59], v[14:15]
	v_fma_f64 v[38:39], v[38:39], v[4:5], -v[80:81]
	v_fma_f64 v[46:47], v[46:47], v[8:9], -v[74:75]
	v_mul_f64 v[74:75], v[34:35], v[2:3]
	v_mul_f64 v[2:3], v[32:33], v[2:3]
	;; [unrolled: 1-line block ×3, first 2 shown]
	v_fma_f64 v[58:59], v[58:59], v[12:13], v[76:77]
	v_mul_f64 v[76:77], v[42:43], v[6:7]
	v_fma_f64 v[68:69], v[68:69], v[16:17], -v[82:83]
	v_mul_f64 v[6:7], v[40:41], v[6:7]
	v_fma_f64 v[60:61], v[60:61], v[12:13], -v[78:79]
	v_fma_f64 v[32:33], v[32:33], v[0:1], v[74:75]
	v_mul_f64 v[74:75], v[50:51], v[10:11]
	v_mul_f64 v[10:11], v[48:49], v[10:11]
	v_fma_f64 v[34:35], v[34:35], v[0:1], -v[2:3]
	v_mul_f64 v[0:1], v[64:65], v[14:15]
	v_fma_f64 v[66:67], v[66:67], v[16:17], v[80:81]
	v_fma_f64 v[40:41], v[40:41], v[4:5], v[76:77]
	v_mul_f64 v[2:3], v[62:63], v[14:15]
	v_fma_f64 v[42:43], v[42:43], v[4:5], -v[6:7]
	v_add_f64 v[4:5], v[36:37], v[58:59]
	v_fma_f64 v[48:49], v[48:49], v[8:9], v[74:75]
	v_fma_f64 v[50:51], v[50:51], v[8:9], -v[10:11]
	v_mul_f64 v[6:7], v[72:73], v[18:19]
	v_add_f64 v[8:9], v[46:47], v[68:69]
	v_fma_f64 v[62:63], v[62:63], v[12:13], v[0:1]
	v_add_f64 v[0:1], v[20:21], v[36:37]
	v_fma_f64 v[64:65], v[64:65], v[12:13], -v[2:3]
	v_fma_f64 v[2:3], v[4:5], -0.5, v[20:21]
	v_add_f64 v[4:5], v[38:39], -v[60:61]
	v_add_f64 v[10:11], v[44:45], v[66:67]
	v_fma_f64 v[74:75], v[70:71], v[16:17], v[6:7]
	v_fma_f64 v[6:7], v[8:9], -0.5, v[30:31]
	v_add_f64 v[8:9], v[44:45], -v[66:67]
	v_add_f64 v[14:15], v[0:1], v[58:59]
	v_add_f64 v[0:1], v[38:39], v[60:61]
	v_mul_f64 v[12:13], v[70:71], v[18:19]
	v_fma_f64 v[18:19], v[4:5], s[4:5], v[2:3]
	v_fma_f64 v[10:11], v[10:11], -0.5, v[28:29]
	v_add_f64 v[20:21], v[46:47], -v[68:69]
	v_fma_f64 v[70:71], v[4:5], s[6:7], v[2:3]
	v_fma_f64 v[2:3], v[8:9], s[6:7], v[6:7]
	;; [unrolled: 1-line block ×3, first 2 shown]
	v_add_f64 v[6:7], v[22:23], v[38:39]
	v_fma_f64 v[0:1], v[0:1], -0.5, v[22:23]
	v_add_f64 v[22:23], v[28:29], v[44:45]
	v_add_f64 v[8:9], v[36:37], -v[58:59]
	v_fma_f64 v[28:29], v[20:21], s[4:5], v[10:11]
	v_fma_f64 v[10:11], v[20:21], s[6:7], v[10:11]
	v_mul_f64 v[20:21], v[2:3], s[4:5]
	v_mul_f64 v[36:37], v[4:5], s[4:5]
	v_add_f64 v[30:31], v[30:31], v[46:47]
	v_add_f64 v[38:39], v[6:7], v[60:61]
	;; [unrolled: 1-line block ×3, first 2 shown]
	v_fma_f64 v[60:61], v[72:73], v[16:17], -v[12:13]
	v_mul_f64 v[2:3], v[2:3], 0.5
	v_mul_f64 v[4:5], v[4:5], -0.5
	v_fma_f64 v[44:45], v[8:9], s[6:7], v[0:1]
	v_fma_f64 v[20:21], v[28:29], 0.5, v[20:21]
	v_fma_f64 v[36:37], v[10:11], -0.5, v[36:37]
	v_add_f64 v[30:31], v[30:31], v[68:69]
	v_fma_f64 v[46:47], v[8:9], s[4:5], v[0:1]
	v_add_f64 v[0:1], v[14:15], v[22:23]
	v_add_f64 v[66:67], v[40:41], v[62:63]
	v_add_f64 v[12:13], v[14:15], -v[22:23]
	v_add_f64 v[22:23], v[50:51], v[60:61]
	v_fma_f64 v[28:29], v[28:29], s[6:7], v[2:3]
	v_fma_f64 v[58:59], v[10:11], s[6:7], v[4:5]
	v_add_f64 v[4:5], v[18:19], v[20:21]
	v_add_f64 v[8:9], v[70:71], v[36:37]
	;; [unrolled: 1-line block ×3, first 2 shown]
	v_add_f64 v[16:17], v[18:19], -v[20:21]
	v_add_f64 v[18:19], v[24:25], v[40:41]
	v_add_f64 v[20:21], v[70:71], -v[36:37]
	v_fma_f64 v[24:25], v[66:67], -0.5, v[24:25]
	v_add_f64 v[36:37], v[42:43], -v[64:65]
	v_add_f64 v[66:67], v[48:49], v[74:75]
	v_add_f64 v[14:15], v[38:39], -v[30:31]
	v_fma_f64 v[22:23], v[22:23], -0.5, v[34:35]
	v_add_f64 v[30:31], v[48:49], -v[74:75]
	v_add_f64 v[38:39], v[18:19], v[62:63]
	v_add_f64 v[18:19], v[26:27], v[42:43]
	;; [unrolled: 1-line block ×3, first 2 shown]
	v_fma_f64 v[68:69], v[36:37], s[4:5], v[24:25]
	v_fma_f64 v[66:67], v[66:67], -0.5, v[32:33]
	v_add_f64 v[70:71], v[50:51], -v[60:61]
	v_fma_f64 v[72:73], v[36:37], s[6:7], v[24:25]
	v_fma_f64 v[24:25], v[30:31], s[6:7], v[22:23]
	v_fma_f64 v[22:23], v[30:31], s[4:5], v[22:23]
	v_add_f64 v[30:31], v[32:33], v[48:49]
	v_add_f64 v[34:35], v[34:35], v[50:51]
	;; [unrolled: 1-line block ×3, first 2 shown]
	v_fma_f64 v[18:19], v[42:43], -0.5, v[26:27]
	v_add_f64 v[26:27], v[40:41], -v[62:63]
	v_fma_f64 v[32:33], v[70:71], s[4:5], v[66:67]
	v_mul_f64 v[40:41], v[24:25], s[4:5]
	v_mul_f64 v[24:25], v[24:25], 0.5
	v_fma_f64 v[36:37], v[70:71], s[6:7], v[66:67]
	v_mul_f64 v[42:43], v[22:23], s[4:5]
	v_mul_f64 v[22:23], v[22:23], -0.5
	v_add_f64 v[62:63], v[30:31], v[74:75]
	v_add_f64 v[60:61], v[34:35], v[60:61]
	v_fma_f64 v[48:49], v[26:27], s[6:7], v[18:19]
	v_fma_f64 v[40:41], v[32:33], 0.5, v[40:41]
	v_fma_f64 v[66:67], v[32:33], s[6:7], v[24:25]
	v_fma_f64 v[50:51], v[26:27], s[4:5], v[18:19]
	v_fma_f64 v[42:43], v[36:37], -0.5, v[42:43]
	v_fma_f64 v[70:71], v[36:37], s[6:7], v[22:23]
	v_add_f64 v[6:7], v[44:45], v[28:29]
	v_add_f64 v[10:11], v[46:47], v[58:59]
	v_add_f64 v[18:19], v[44:45], -v[28:29]
	v_add_f64 v[22:23], v[46:47], -v[58:59]
	v_add_f64 v[24:25], v[38:39], v[62:63]
	v_add_f64 v[26:27], v[64:65], v[60:61]
	v_add_f64 v[28:29], v[68:69], v[40:41]
	v_add_f64 v[30:31], v[48:49], v[66:67]
	v_add_f64 v[32:33], v[72:73], v[42:43]
	v_add_f64 v[34:35], v[50:51], v[70:71]
	v_add_f64 v[36:37], v[38:39], -v[62:63]
	v_add_f64 v[40:41], v[68:69], -v[40:41]
	;; [unrolled: 1-line block ×6, first 2 shown]
	ds_write_b128 v88, v[0:3]
	ds_write_b128 v88, v[4:7] offset:2496
	ds_write_b128 v88, v[8:11] offset:4992
	;; [unrolled: 1-line block ×11, first 2 shown]
	v_lshlrev_b64 v[8:9], 4, v[54:55]
	v_mov_b32_e32 v0, s13
	v_add_co_u32_e32 v18, vcc, s12, v8
	v_addc_co_u32_e32 v19, vcc, v0, v9, vcc
	s_movk_i32 s4, 0x3000
	v_add_co_u32_e32 v14, vcc, s4, v18
	v_addc_co_u32_e32 v15, vcc, 0, v19, vcc
	s_movk_i32 s4, 0x4000
	;; [unrolled: 3-line block ×3, first 2 shown]
	s_waitcnt lgkmcnt(0)
	s_barrier
	global_load_dwordx4 v[0:3], v[14:15], off offset:2480
	global_load_dwordx4 v[4:7], v[16:17], off offset:880
	;; [unrolled: 1-line block ×3, first 2 shown]
	v_add_co_u32_e32 v14, vcc, s4, v18
	v_addc_co_u32_e32 v15, vcc, 0, v19, vcc
	global_load_dwordx4 v[14:17], v[14:15], off offset:1776
	s_movk_i32 s4, 0x6000
	v_add_co_u32_e32 v26, vcc, s4, v18
	v_addc_co_u32_e32 v27, vcc, 0, v19, vcc
	global_load_dwordx4 v[18:21], v[26:27], off offset:176
	global_load_dwordx4 v[22:25], v[26:27], off offset:2672
	ds_read_b128 v[26:29], v88
	ds_read_b128 v[30:33], v88 offset:2496
	ds_read_b128 v[34:37], v88 offset:14976
	;; [unrolled: 1-line block ×11, first 2 shown]
	s_waitcnt vmcnt(0) lgkmcnt(0)
	s_barrier
	s_add_u32 s6, s12, 0x7430
	s_addc_u32 s7, s13, 0
	v_cmp_ne_u32_e32 vcc, 0, v54
	v_mul_f64 v[50:51], v[36:37], v[2:3]
	v_mul_f64 v[2:3], v[34:35], v[2:3]
	;; [unrolled: 1-line block ×8, first 2 shown]
	v_fma_f64 v[34:35], v[34:35], v[0:1], v[50:51]
	v_fma_f64 v[2:3], v[36:37], v[0:1], -v[2:3]
	v_fma_f64 v[36:37], v[38:39], v[4:5], v[82:83]
	v_fma_f64 v[6:7], v[40:41], v[4:5], -v[6:7]
	;; [unrolled: 2-line block ×4, first 2 shown]
	v_mul_f64 v[10:11], v[76:77], v[20:21]
	v_mul_f64 v[12:13], v[74:75], v[20:21]
	;; [unrolled: 1-line block ×4, first 2 shown]
	v_add_f64 v[0:1], v[26:27], -v[34:35]
	v_add_f64 v[2:3], v[28:29], -v[2:3]
	;; [unrolled: 1-line block ×4, first 2 shown]
	v_fma_f64 v[34:35], v[74:75], v[18:19], v[10:11]
	v_fma_f64 v[36:37], v[76:77], v[18:19], -v[12:13]
	v_fma_f64 v[60:61], v[78:79], v[22:23], v[14:15]
	v_fma_f64 v[62:63], v[80:81], v[22:23], -v[16:17]
	v_add_f64 v[18:19], v[42:43], -v[38:39]
	v_add_f64 v[20:21], v[44:45], -v[40:41]
	;; [unrolled: 1-line block ×4, first 2 shown]
	v_fma_f64 v[10:11], v[26:27], 2.0, -v[0:1]
	v_fma_f64 v[12:13], v[28:29], 2.0, -v[2:3]
	;; [unrolled: 1-line block ×4, first 2 shown]
	v_add_f64 v[26:27], v[66:67], -v[34:35]
	v_add_f64 v[28:29], v[68:69], -v[36:37]
	;; [unrolled: 1-line block ×4, first 2 shown]
	v_fma_f64 v[34:35], v[42:43], 2.0, -v[18:19]
	v_fma_f64 v[36:37], v[44:45], 2.0, -v[20:21]
	;; [unrolled: 1-line block ×8, first 2 shown]
	ds_write_b128 v88, v[10:13]
	ds_write_b128 v88, v[0:3] offset:14976
	ds_write_b128 v88, v[14:17] offset:2496
	;; [unrolled: 1-line block ×11, first 2 shown]
	s_waitcnt lgkmcnt(0)
	s_barrier
	ds_read_b128 v[4:7], v88
	v_lshlrev_b32_e32 v0, 4, v54
	v_sub_u32_e32 v14, 0, v0
                                        ; implicit-def: $vgpr0_vgpr1
                                        ; implicit-def: $vgpr10_vgpr11
                                        ; implicit-def: $vgpr12_vgpr13
	s_and_saveexec_b64 s[4:5], vcc
	s_xor_b64 s[4:5], exec, s[4:5]
	s_cbranch_execz .LBB0_17
; %bb.16:
	v_mov_b32_e32 v1, s7
	v_add_co_u32_e32 v0, vcc, s6, v8
	v_addc_co_u32_e32 v1, vcc, v1, v9, vcc
	global_load_dwordx4 v[15:18], v[0:1], off
	ds_read_b128 v[0:3], v14 offset:29952
	s_waitcnt lgkmcnt(0)
	v_add_f64 v[10:11], v[4:5], -v[0:1]
	v_add_f64 v[12:13], v[6:7], v[2:3]
	v_add_f64 v[2:3], v[6:7], -v[2:3]
	v_add_f64 v[0:1], v[4:5], v[0:1]
	v_mul_f64 v[6:7], v[10:11], 0.5
	v_mul_f64 v[4:5], v[12:13], 0.5
	;; [unrolled: 1-line block ×3, first 2 shown]
	s_waitcnt vmcnt(0)
	v_mul_f64 v[10:11], v[6:7], v[17:18]
	v_fma_f64 v[12:13], v[4:5], v[17:18], v[2:3]
	v_fma_f64 v[2:3], v[4:5], v[17:18], -v[2:3]
	v_fma_f64 v[19:20], v[0:1], 0.5, v[10:11]
	v_fma_f64 v[0:1], v[0:1], 0.5, -v[10:11]
	v_fma_f64 v[12:13], -v[15:16], v[6:7], v[12:13]
	v_fma_f64 v[2:3], -v[15:16], v[6:7], v[2:3]
	v_fma_f64 v[10:11], v[4:5], v[15:16], v[19:20]
	v_fma_f64 v[0:1], -v[4:5], v[15:16], v[0:1]
                                        ; implicit-def: $vgpr4_vgpr5
.LBB0_17:
	s_andn2_saveexec_b64 s[4:5], s[4:5]
	s_cbranch_execz .LBB0_19
; %bb.18:
	s_waitcnt lgkmcnt(0)
	v_add_f64 v[10:11], v[4:5], v[6:7]
	v_add_f64 v[0:1], v[4:5], -v[6:7]
	v_mov_b32_e32 v4, 0
	ds_read_b64 v[2:3], v4 offset:14984
	v_mov_b32_e32 v12, 0
	v_mov_b32_e32 v13, 0
	s_waitcnt lgkmcnt(0)
	v_xor_b32_e32 v3, 0x80000000, v3
	ds_write_b64 v4, v[2:3] offset:14984
	v_mov_b32_e32 v2, v12
	v_mov_b32_e32 v3, v13
.LBB0_19:
	s_or_b64 exec, exec, s[4:5]
	s_waitcnt lgkmcnt(0)
	v_mov_b32_e32 v4, s7
	v_add_co_u32_e32 v19, vcc, s6, v8
	v_addc_co_u32_e32 v20, vcc, v4, v9, vcc
	global_load_dwordx4 v[4:7], v[19:20], off offset:2496
	s_movk_i32 s4, 0x1000
	v_add_co_u32_e32 v21, vcc, s4, v19
	v_addc_co_u32_e32 v22, vcc, 0, v20, vcc
	global_load_dwordx4 v[15:18], v[21:22], off offset:896
	ds_write2_b64 v88, v[10:11], v[12:13] offset1:1
	ds_write_b128 v14, v[0:3] offset:29952
	ds_read_b128 v[0:3], v88 offset:2496
	ds_read_b128 v[8:11], v14 offset:27456
	s_movk_i32 s4, 0x2000
	s_waitcnt lgkmcnt(0)
	v_add_f64 v[12:13], v[0:1], -v[8:9]
	v_add_f64 v[23:24], v[2:3], v[10:11]
	v_add_f64 v[2:3], v[2:3], -v[10:11]
	v_add_f64 v[0:1], v[0:1], v[8:9]
	v_mul_f64 v[10:11], v[12:13], 0.5
	v_mul_f64 v[12:13], v[23:24], 0.5
	;; [unrolled: 1-line block ×3, first 2 shown]
	s_waitcnt vmcnt(1)
	v_mul_f64 v[8:9], v[10:11], v[6:7]
	v_fma_f64 v[23:24], v[12:13], v[6:7], v[2:3]
	v_fma_f64 v[6:7], v[12:13], v[6:7], -v[2:3]
	v_fma_f64 v[25:26], v[0:1], 0.5, v[8:9]
	v_fma_f64 v[8:9], v[0:1], 0.5, -v[8:9]
	global_load_dwordx4 v[0:3], v[21:22], off offset:3392
	v_fma_f64 v[21:22], -v[4:5], v[10:11], v[23:24]
	v_fma_f64 v[6:7], -v[4:5], v[10:11], v[6:7]
	v_fma_f64 v[10:11], v[12:13], v[4:5], v[25:26]
	v_fma_f64 v[4:5], -v[12:13], v[4:5], v[8:9]
	v_add_u32_e32 v8, 0x800, v88
	ds_write2_b64 v8, v[10:11], v[21:22] offset0:56 offset1:57
	ds_write_b128 v14, v[4:7] offset:27456
	ds_read_b128 v[4:7], v88 offset:4992
	ds_read_b128 v[8:11], v14 offset:24960
	s_waitcnt lgkmcnt(0)
	v_add_f64 v[12:13], v[4:5], -v[8:9]
	v_add_f64 v[21:22], v[6:7], v[10:11]
	v_add_f64 v[6:7], v[6:7], -v[10:11]
	v_add_f64 v[4:5], v[4:5], v[8:9]
	v_mul_f64 v[10:11], v[12:13], 0.5
	v_mul_f64 v[12:13], v[21:22], 0.5
	;; [unrolled: 1-line block ×3, first 2 shown]
	s_waitcnt vmcnt(1)
	v_mul_f64 v[8:9], v[10:11], v[17:18]
	v_fma_f64 v[21:22], v[12:13], v[17:18], v[6:7]
	v_fma_f64 v[17:18], v[12:13], v[17:18], -v[6:7]
	v_fma_f64 v[23:24], v[4:5], 0.5, v[8:9]
	v_fma_f64 v[8:9], v[4:5], 0.5, -v[8:9]
	v_add_co_u32_e32 v4, vcc, s4, v19
	v_addc_co_u32_e32 v5, vcc, 0, v20, vcc
	global_load_dwordx4 v[4:7], v[4:5], off offset:1792
	v_fma_f64 v[21:22], -v[15:16], v[10:11], v[21:22]
	v_fma_f64 v[10:11], -v[15:16], v[10:11], v[17:18]
	v_fma_f64 v[17:18], v[12:13], v[15:16], v[23:24]
	v_fma_f64 v[8:9], -v[12:13], v[15:16], v[8:9]
	v_add_u32_e32 v12, 0x1000, v88
	s_movk_i32 s4, 0x3000
	ds_write2_b64 v12, v[17:18], v[21:22] offset0:112 offset1:113
	ds_write_b128 v14, v[8:11] offset:24960
	ds_read_b128 v[8:11], v88 offset:7488
	ds_read_b128 v[15:18], v14 offset:22464
	s_waitcnt lgkmcnt(0)
	v_add_f64 v[12:13], v[8:9], -v[15:16]
	v_add_f64 v[21:22], v[10:11], v[17:18]
	v_add_f64 v[10:11], v[10:11], -v[17:18]
	v_add_f64 v[8:9], v[8:9], v[15:16]
	v_mul_f64 v[12:13], v[12:13], 0.5
	v_mul_f64 v[17:18], v[21:22], 0.5
	;; [unrolled: 1-line block ×3, first 2 shown]
	s_waitcnt vmcnt(1)
	v_mul_f64 v[15:16], v[12:13], v[2:3]
	v_fma_f64 v[21:22], v[17:18], v[2:3], v[10:11]
	v_fma_f64 v[2:3], v[17:18], v[2:3], -v[10:11]
	v_fma_f64 v[23:24], v[8:9], 0.5, v[15:16]
	v_fma_f64 v[15:16], v[8:9], 0.5, -v[15:16]
	v_add_co_u32_e32 v8, vcc, s4, v19
	v_addc_co_u32_e32 v9, vcc, 0, v20, vcc
	global_load_dwordx4 v[8:11], v[8:9], off offset:192
	v_fma_f64 v[19:20], -v[0:1], v[12:13], v[21:22]
	v_fma_f64 v[2:3], -v[0:1], v[12:13], v[2:3]
	v_fma_f64 v[12:13], v[17:18], v[0:1], v[23:24]
	v_fma_f64 v[0:1], -v[17:18], v[0:1], v[15:16]
	v_add_u32_e32 v15, 0x1800, v88
	ds_write2_b64 v15, v[12:13], v[19:20] offset0:168 offset1:169
	ds_write_b128 v14, v[0:3] offset:22464
	ds_read_b128 v[0:3], v88 offset:9984
	ds_read_b128 v[15:18], v14 offset:19968
	s_waitcnt lgkmcnt(0)
	v_add_f64 v[12:13], v[0:1], -v[15:16]
	v_add_f64 v[19:20], v[2:3], v[17:18]
	v_add_f64 v[2:3], v[2:3], -v[17:18]
	v_add_f64 v[0:1], v[0:1], v[15:16]
	v_mul_f64 v[12:13], v[12:13], 0.5
	v_mul_f64 v[17:18], v[19:20], 0.5
	;; [unrolled: 1-line block ×3, first 2 shown]
	s_waitcnt vmcnt(1)
	v_mul_f64 v[15:16], v[12:13], v[6:7]
	v_fma_f64 v[19:20], v[17:18], v[6:7], v[2:3]
	v_fma_f64 v[2:3], v[17:18], v[6:7], -v[2:3]
	v_fma_f64 v[6:7], v[0:1], 0.5, v[15:16]
	v_fma_f64 v[0:1], v[0:1], 0.5, -v[15:16]
	v_fma_f64 v[15:16], -v[4:5], v[12:13], v[19:20]
	v_fma_f64 v[2:3], -v[4:5], v[12:13], v[2:3]
	v_fma_f64 v[6:7], v[17:18], v[4:5], v[6:7]
	v_fma_f64 v[0:1], -v[17:18], v[4:5], v[0:1]
	v_add_u32_e32 v4, 0x2000, v88
	ds_write2_b64 v4, v[6:7], v[15:16] offset0:224 offset1:225
	ds_write_b128 v14, v[0:3] offset:19968
	ds_read_b128 v[0:3], v88 offset:12480
	ds_read_b128 v[4:7], v14 offset:17472
	s_waitcnt lgkmcnt(0)
	v_add_f64 v[12:13], v[0:1], -v[4:5]
	v_add_f64 v[15:16], v[2:3], v[6:7]
	v_add_f64 v[2:3], v[2:3], -v[6:7]
	v_add_f64 v[0:1], v[0:1], v[4:5]
	v_mul_f64 v[6:7], v[12:13], 0.5
	v_mul_f64 v[12:13], v[15:16], 0.5
	;; [unrolled: 1-line block ×3, first 2 shown]
	s_waitcnt vmcnt(0)
	v_mul_f64 v[4:5], v[6:7], v[10:11]
	v_fma_f64 v[15:16], v[12:13], v[10:11], v[2:3]
	v_fma_f64 v[2:3], v[12:13], v[10:11], -v[2:3]
	v_fma_f64 v[10:11], v[0:1], 0.5, v[4:5]
	v_fma_f64 v[0:1], v[0:1], 0.5, -v[4:5]
	v_fma_f64 v[4:5], -v[8:9], v[6:7], v[15:16]
	v_fma_f64 v[2:3], -v[8:9], v[6:7], v[2:3]
	v_fma_f64 v[6:7], v[12:13], v[8:9], v[10:11]
	v_fma_f64 v[0:1], -v[12:13], v[8:9], v[0:1]
	v_add_u32_e32 v8, 0x3000, v88
	ds_write2_b64 v8, v[6:7], v[4:5] offset0:24 offset1:25
	ds_write_b128 v14, v[0:3] offset:17472
	s_waitcnt lgkmcnt(0)
	s_barrier
	s_and_saveexec_b64 s[4:5], s[0:1]
	s_cbranch_execz .LBB0_22
; %bb.20:
	v_mul_lo_u32 v2, s3, v56
	v_mul_lo_u32 v3, s2, v57
	v_mad_u64_u32 v[0:1], s[0:1], s2, v56, 0
	v_mov_b32_e32 v6, s11
	v_lshl_add_u32 v12, v54, 4, 0
	v_add3_u32 v1, v1, v3, v2
	v_lshlrev_b64 v[0:1], 4, v[0:1]
	v_mov_b32_e32 v55, 0
	v_add_co_u32_e32 v0, vcc, s10, v0
	v_addc_co_u32_e32 v8, vcc, v6, v1, vcc
	v_lshlrev_b64 v[6:7], 4, v[52:53]
	ds_read_b128 v[2:5], v12
	v_add_co_u32_e32 v1, vcc, v0, v6
	v_addc_co_u32_e32 v0, vcc, v8, v7, vcc
	v_lshlrev_b64 v[6:7], 4, v[54:55]
	s_movk_i32 s0, 0x9b
	v_add_co_u32_e32 v10, vcc, v1, v6
	v_addc_co_u32_e32 v11, vcc, v0, v7, vcc
	ds_read_b128 v[6:9], v12 offset:2496
	s_waitcnt lgkmcnt(1)
	global_store_dwordx4 v[10:11], v[2:5], off
	s_nop 0
	v_add_u32_e32 v2, 0x9c, v54
	v_mov_b32_e32 v3, v55
	v_lshlrev_b64 v[2:3], 4, v[2:3]
	v_add_co_u32_e32 v2, vcc, v1, v2
	v_addc_co_u32_e32 v3, vcc, v0, v3, vcc
	s_waitcnt lgkmcnt(0)
	global_store_dwordx4 v[2:3], v[6:9], off
	ds_read_b128 v[2:5], v12 offset:4992
	v_add_u32_e32 v6, 0x138, v54
	v_mov_b32_e32 v7, v55
	v_lshlrev_b64 v[6:7], 4, v[6:7]
	v_add_co_u32_e32 v10, vcc, v1, v6
	v_addc_co_u32_e32 v11, vcc, v0, v7, vcc
	ds_read_b128 v[6:9], v12 offset:7488
	s_waitcnt lgkmcnt(1)
	global_store_dwordx4 v[10:11], v[2:5], off
	s_nop 0
	v_add_u32_e32 v2, 0x1d4, v54
	v_mov_b32_e32 v3, v55
	v_lshlrev_b64 v[2:3], 4, v[2:3]
	v_add_co_u32_e32 v2, vcc, v1, v2
	v_addc_co_u32_e32 v3, vcc, v0, v3, vcc
	s_waitcnt lgkmcnt(0)
	global_store_dwordx4 v[2:3], v[6:9], off
	ds_read_b128 v[2:5], v12 offset:9984
	v_add_u32_e32 v6, 0x270, v54
	v_mov_b32_e32 v7, v55
	v_lshlrev_b64 v[6:7], 4, v[6:7]
	;; [unrolled: 17-line block ×5, first 2 shown]
	v_add_co_u32_e32 v10, vcc, v1, v6
	v_addc_co_u32_e32 v11, vcc, v0, v7, vcc
	ds_read_b128 v[6:9], v12 offset:27456
	s_waitcnt lgkmcnt(1)
	global_store_dwordx4 v[10:11], v[2:5], off
	s_nop 0
	v_add_u32_e32 v2, 0x6b4, v54
	v_mov_b32_e32 v3, v55
	v_lshlrev_b64 v[2:3], 4, v[2:3]
	v_add_co_u32_e32 v2, vcc, v1, v2
	v_addc_co_u32_e32 v3, vcc, v0, v3, vcc
	v_cmp_eq_u32_e32 vcc, s0, v54
	s_waitcnt lgkmcnt(0)
	global_store_dwordx4 v[2:3], v[6:9], off
	s_and_b64 exec, exec, vcc
	s_cbranch_execz .LBB0_22
; %bb.21:
	ds_read_b128 v[2:5], v55 offset:29952
	v_add_co_u32_e32 v6, vcc, 0x7000, v1
	v_addc_co_u32_e32 v7, vcc, 0, v0, vcc
	s_waitcnt lgkmcnt(0)
	global_store_dwordx4 v[6:7], v[2:5], off offset:1280
.LBB0_22:
	s_endpgm
	.section	.rodata,"a",@progbits
	.p2align	6, 0x0
	.amdhsa_kernel fft_rtc_back_len1872_factors_13_3_4_6_2_wgs_156_tpt_156_halfLds_dp_op_CI_CI_unitstride_sbrr_R2C_dirReg
		.amdhsa_group_segment_fixed_size 0
		.amdhsa_private_segment_fixed_size 0
		.amdhsa_kernarg_size 104
		.amdhsa_user_sgpr_count 6
		.amdhsa_user_sgpr_private_segment_buffer 1
		.amdhsa_user_sgpr_dispatch_ptr 0
		.amdhsa_user_sgpr_queue_ptr 0
		.amdhsa_user_sgpr_kernarg_segment_ptr 1
		.amdhsa_user_sgpr_dispatch_id 0
		.amdhsa_user_sgpr_flat_scratch_init 0
		.amdhsa_user_sgpr_private_segment_size 0
		.amdhsa_uses_dynamic_stack 0
		.amdhsa_system_sgpr_private_segment_wavefront_offset 0
		.amdhsa_system_sgpr_workgroup_id_x 1
		.amdhsa_system_sgpr_workgroup_id_y 0
		.amdhsa_system_sgpr_workgroup_id_z 0
		.amdhsa_system_sgpr_workgroup_info 0
		.amdhsa_system_vgpr_workitem_id 0
		.amdhsa_next_free_vgpr 127
		.amdhsa_next_free_sgpr 44
		.amdhsa_reserve_vcc 1
		.amdhsa_reserve_flat_scratch 0
		.amdhsa_float_round_mode_32 0
		.amdhsa_float_round_mode_16_64 0
		.amdhsa_float_denorm_mode_32 3
		.amdhsa_float_denorm_mode_16_64 3
		.amdhsa_dx10_clamp 1
		.amdhsa_ieee_mode 1
		.amdhsa_fp16_overflow 0
		.amdhsa_exception_fp_ieee_invalid_op 0
		.amdhsa_exception_fp_denorm_src 0
		.amdhsa_exception_fp_ieee_div_zero 0
		.amdhsa_exception_fp_ieee_overflow 0
		.amdhsa_exception_fp_ieee_underflow 0
		.amdhsa_exception_fp_ieee_inexact 0
		.amdhsa_exception_int_div_zero 0
	.end_amdhsa_kernel
	.text
.Lfunc_end0:
	.size	fft_rtc_back_len1872_factors_13_3_4_6_2_wgs_156_tpt_156_halfLds_dp_op_CI_CI_unitstride_sbrr_R2C_dirReg, .Lfunc_end0-fft_rtc_back_len1872_factors_13_3_4_6_2_wgs_156_tpt_156_halfLds_dp_op_CI_CI_unitstride_sbrr_R2C_dirReg
                                        ; -- End function
	.section	.AMDGPU.csdata,"",@progbits
; Kernel info:
; codeLenInByte = 11916
; NumSgprs: 48
; NumVgprs: 127
; ScratchSize: 0
; MemoryBound: 0
; FloatMode: 240
; IeeeMode: 1
; LDSByteSize: 0 bytes/workgroup (compile time only)
; SGPRBlocks: 5
; VGPRBlocks: 31
; NumSGPRsForWavesPerEU: 48
; NumVGPRsForWavesPerEU: 127
; Occupancy: 2
; WaveLimiterHint : 1
; COMPUTE_PGM_RSRC2:SCRATCH_EN: 0
; COMPUTE_PGM_RSRC2:USER_SGPR: 6
; COMPUTE_PGM_RSRC2:TRAP_HANDLER: 0
; COMPUTE_PGM_RSRC2:TGID_X_EN: 1
; COMPUTE_PGM_RSRC2:TGID_Y_EN: 0
; COMPUTE_PGM_RSRC2:TGID_Z_EN: 0
; COMPUTE_PGM_RSRC2:TIDIG_COMP_CNT: 0
	.type	__hip_cuid_74abbb10d977241a,@object ; @__hip_cuid_74abbb10d977241a
	.section	.bss,"aw",@nobits
	.globl	__hip_cuid_74abbb10d977241a
__hip_cuid_74abbb10d977241a:
	.byte	0                               ; 0x0
	.size	__hip_cuid_74abbb10d977241a, 1

	.ident	"AMD clang version 19.0.0git (https://github.com/RadeonOpenCompute/llvm-project roc-6.4.0 25133 c7fe45cf4b819c5991fe208aaa96edf142730f1d)"
	.section	".note.GNU-stack","",@progbits
	.addrsig
	.addrsig_sym __hip_cuid_74abbb10d977241a
	.amdgpu_metadata
---
amdhsa.kernels:
  - .args:
      - .actual_access:  read_only
        .address_space:  global
        .offset:         0
        .size:           8
        .value_kind:     global_buffer
      - .offset:         8
        .size:           8
        .value_kind:     by_value
      - .actual_access:  read_only
        .address_space:  global
        .offset:         16
        .size:           8
        .value_kind:     global_buffer
      - .actual_access:  read_only
        .address_space:  global
        .offset:         24
        .size:           8
        .value_kind:     global_buffer
      - .actual_access:  read_only
        .address_space:  global
        .offset:         32
        .size:           8
        .value_kind:     global_buffer
      - .offset:         40
        .size:           8
        .value_kind:     by_value
      - .actual_access:  read_only
        .address_space:  global
        .offset:         48
        .size:           8
        .value_kind:     global_buffer
      - .actual_access:  read_only
        .address_space:  global
        .offset:         56
        .size:           8
        .value_kind:     global_buffer
      - .offset:         64
        .size:           4
        .value_kind:     by_value
      - .actual_access:  read_only
        .address_space:  global
        .offset:         72
        .size:           8
        .value_kind:     global_buffer
      - .actual_access:  read_only
        .address_space:  global
        .offset:         80
        .size:           8
        .value_kind:     global_buffer
      - .actual_access:  read_only
        .address_space:  global
        .offset:         88
        .size:           8
        .value_kind:     global_buffer
      - .actual_access:  write_only
        .address_space:  global
        .offset:         96
        .size:           8
        .value_kind:     global_buffer
    .group_segment_fixed_size: 0
    .kernarg_segment_align: 8
    .kernarg_segment_size: 104
    .language:       OpenCL C
    .language_version:
      - 2
      - 0
    .max_flat_workgroup_size: 156
    .name:           fft_rtc_back_len1872_factors_13_3_4_6_2_wgs_156_tpt_156_halfLds_dp_op_CI_CI_unitstride_sbrr_R2C_dirReg
    .private_segment_fixed_size: 0
    .sgpr_count:     48
    .sgpr_spill_count: 0
    .symbol:         fft_rtc_back_len1872_factors_13_3_4_6_2_wgs_156_tpt_156_halfLds_dp_op_CI_CI_unitstride_sbrr_R2C_dirReg.kd
    .uniform_work_group_size: 1
    .uses_dynamic_stack: false
    .vgpr_count:     127
    .vgpr_spill_count: 0
    .wavefront_size: 64
amdhsa.target:   amdgcn-amd-amdhsa--gfx906
amdhsa.version:
  - 1
  - 2
...

	.end_amdgpu_metadata
